;; amdgpu-corpus repo=ROCm/rocFFT kind=compiled arch=gfx1201 opt=O3
	.text
	.amdgcn_target "amdgcn-amd-amdhsa--gfx1201"
	.amdhsa_code_object_version 6
	.protected	fft_rtc_back_len80_factors_2_2_4_5_wgs_125_tpt_5_dim3_sp_ip_CI_sbcc_twdbase8_3step_dirReg ; -- Begin function fft_rtc_back_len80_factors_2_2_4_5_wgs_125_tpt_5_dim3_sp_ip_CI_sbcc_twdbase8_3step_dirReg
	.globl	fft_rtc_back_len80_factors_2_2_4_5_wgs_125_tpt_5_dim3_sp_ip_CI_sbcc_twdbase8_3step_dirReg
	.p2align	8
	.type	fft_rtc_back_len80_factors_2_2_4_5_wgs_125_tpt_5_dim3_sp_ip_CI_sbcc_twdbase8_3step_dirReg,@function
fft_rtc_back_len80_factors_2_2_4_5_wgs_125_tpt_5_dim3_sp_ip_CI_sbcc_twdbase8_3step_dirReg: ; @fft_rtc_back_len80_factors_2_2_4_5_wgs_125_tpt_5_dim3_sp_ip_CI_sbcc_twdbase8_3step_dirReg
; %bb.0:
	s_load_b128 s[8:11], s[0:1], 0x10
	s_mov_b32 s3, 0
	s_mov_b32 s4, 0xd7093700
	;; [unrolled: 1-line block ×4, first 2 shown]
	s_movk_i32 s6, 0xffe7
	s_add_nc_u64 s[4:5], s[2:3], s[4:5]
	s_mov_b32 s7, -1
	s_add_co_i32 s5, s5, 0xa3d7070
	s_delay_alu instid0(SALU_CYCLE_1) | instskip(NEXT) | instid1(SALU_CYCLE_1)
	s_mul_u64 s[6:7], s[4:5], s[6:7]
	s_mul_hi_u32 s15, s4, s7
	s_mul_i32 s14, s4, s7
	s_mul_hi_u32 s2, s4, s6
	s_mul_i32 s17, s5, s6
	s_add_nc_u64 s[14:15], s[2:3], s[14:15]
	s_mul_hi_u32 s16, s5, s6
	s_mul_hi_u32 s18, s5, s7
	s_add_co_u32 s2, s14, s17
	s_wait_kmcnt 0x0
	s_load_b64 s[12:13], s[8:9], 0x8
	s_add_co_ci_u32 s2, s15, s16
	s_mul_i32 s6, s5, s7
	s_add_co_ci_u32 s7, s18, 0
	s_delay_alu instid0(SALU_CYCLE_1) | instskip(NEXT) | instid1(SALU_CYCLE_1)
	s_add_nc_u64 s[6:7], s[2:3], s[6:7]
	v_add_co_u32 v1, s2, s4, s6
	s_delay_alu instid0(VALU_DEP_1) | instskip(SKIP_1) | instid1(VALU_DEP_1)
	s_cmp_lg_u32 s2, 0
	s_add_co_ci_u32 s14, s5, s7
	v_readfirstlane_b32 s15, v1
	s_wait_kmcnt 0x0
	s_add_nc_u64 s[4:5], s[12:13], -1
	s_wait_alu 0xfffe
	s_mul_hi_u32 s7, s4, s14
	s_mul_i32 s6, s4, s14
	s_mul_hi_u32 s2, s4, s15
	s_mul_hi_u32 s17, s5, s15
	s_mul_i32 s15, s5, s15
	s_wait_alu 0xfffe
	s_add_nc_u64 s[6:7], s[2:3], s[6:7]
	s_mul_hi_u32 s16, s5, s14
	s_wait_alu 0xfffe
	s_add_co_u32 s2, s6, s15
	s_add_co_ci_u32 s2, s7, s17
	s_mul_i32 s14, s5, s14
	s_add_co_ci_u32 s15, s16, 0
	s_delay_alu instid0(SALU_CYCLE_1) | instskip(SKIP_2) | instid1(SALU_CYCLE_1)
	s_add_nc_u64 s[6:7], s[2:3], s[14:15]
	s_wait_alu 0xfffe
	s_mul_u64 s[14:15], s[6:7], 25
	v_sub_co_u32 v1, s2, s4, s14
	s_delay_alu instid0(VALU_DEP_1) | instskip(SKIP_1) | instid1(VALU_DEP_1)
	s_cmp_lg_u32 s2, 0
	s_sub_co_ci_u32 s16, s5, s15
	v_sub_co_u32 v2, s4, v1, 25
	s_delay_alu instid0(VALU_DEP_1) | instskip(SKIP_2) | instid1(VALU_DEP_2)
	s_cmp_lg_u32 s4, 0
	v_readfirstlane_b32 s17, v1
	s_sub_co_ci_u32 s14, s16, 0
	v_readfirstlane_b32 s2, v2
	s_add_nc_u64 s[4:5], s[6:7], 1
	s_delay_alu instid0(VALU_DEP_1)
	s_cmp_gt_u32 s2, 24
	s_cselect_b32 s2, -1, 0
	s_wait_alu 0xfffe
	s_cmp_eq_u32 s14, 0
	s_add_nc_u64 s[14:15], s[6:7], 2
	s_cselect_b32 s2, s2, -1
	s_delay_alu instid0(SALU_CYCLE_1)
	s_cmp_lg_u32 s2, 0
	s_wait_alu 0xfffe
	s_cselect_b32 s2, s14, s4
	s_cselect_b32 s4, s15, s5
	s_cmp_gt_u32 s17, 24
	s_cselect_b32 s5, -1, 0
	s_cmp_eq_u32 s16, 0
	s_mov_b64 s[16:17], 0
	s_wait_alu 0xfffe
	s_cselect_b32 s5, s5, -1
	s_wait_alu 0xfffe
	s_cmp_lg_u32 s5, 0
	s_cselect_b32 s5, s4, s7
	s_cselect_b32 s4, s2, s6
	s_mov_b32 s2, ttmp9
	s_wait_alu 0xfffe
	s_add_nc_u64 s[14:15], s[4:5], 1
	s_wait_alu 0xfffe
	v_cmp_lt_u64_e64 s4, s[2:3], s[14:15]
	s_delay_alu instid0(VALU_DEP_1)
	s_and_b32 vcc_lo, exec_lo, s4
	s_cbranch_vccnz .LBB0_2
; %bb.1:
	v_cvt_f32_u32_e32 v1, s14
	s_sub_co_i32 s5, 0, s14
	s_mov_b32 s17, s3
	s_delay_alu instid0(VALU_DEP_1) | instskip(NEXT) | instid1(TRANS32_DEP_1)
	v_rcp_iflag_f32_e32 v1, v1
	v_mul_f32_e32 v1, 0x4f7ffffe, v1
	s_delay_alu instid0(VALU_DEP_1) | instskip(NEXT) | instid1(VALU_DEP_1)
	v_cvt_u32_f32_e32 v1, v1
	v_readfirstlane_b32 s4, v1
	s_wait_alu 0xfffe
	s_delay_alu instid0(VALU_DEP_1)
	s_mul_i32 s5, s5, s4
	s_wait_alu 0xfffe
	s_mul_hi_u32 s5, s4, s5
	s_wait_alu 0xfffe
	s_add_co_i32 s4, s4, s5
	s_wait_alu 0xfffe
	s_mul_hi_u32 s4, s2, s4
	s_wait_alu 0xfffe
	s_mul_i32 s5, s4, s14
	s_add_co_i32 s6, s4, 1
	s_wait_alu 0xfffe
	s_sub_co_i32 s5, s2, s5
	s_wait_alu 0xfffe
	s_sub_co_i32 s7, s5, s14
	s_cmp_ge_u32 s5, s14
	s_cselect_b32 s4, s6, s4
	s_wait_alu 0xfffe
	s_cselect_b32 s5, s7, s5
	s_add_co_i32 s6, s4, 1
	s_wait_alu 0xfffe
	s_cmp_ge_u32 s5, s14
	s_cselect_b32 s16, s6, s4
.LBB0_2:
	s_load_b64 s[8:9], s[8:9], 0x10
	s_mov_b64 s[18:19], s[16:17]
	s_wait_kmcnt 0x0
	v_cmp_lt_u64_e64 s4, s[16:17], s[8:9]
	s_delay_alu instid0(VALU_DEP_1)
	s_and_b32 vcc_lo, exec_lo, s4
	s_cbranch_vccnz .LBB0_4
; %bb.3:
	v_cvt_f32_u32_e32 v1, s8
	s_sub_co_i32 s5, 0, s8
	s_mov_b32 s19, 0
	s_delay_alu instid0(VALU_DEP_1) | instskip(NEXT) | instid1(TRANS32_DEP_1)
	v_rcp_iflag_f32_e32 v1, v1
	v_mul_f32_e32 v1, 0x4f7ffffe, v1
	s_delay_alu instid0(VALU_DEP_1) | instskip(NEXT) | instid1(VALU_DEP_1)
	v_cvt_u32_f32_e32 v1, v1
	v_readfirstlane_b32 s4, v1
	s_wait_alu 0xfffe
	s_delay_alu instid0(VALU_DEP_1)
	s_mul_i32 s5, s5, s4
	s_wait_alu 0xfffe
	s_mul_hi_u32 s5, s4, s5
	s_wait_alu 0xfffe
	s_add_co_i32 s4, s4, s5
	s_wait_alu 0xfffe
	s_mul_hi_u32 s4, s16, s4
	s_wait_alu 0xfffe
	s_mul_i32 s4, s4, s8
	s_wait_alu 0xfffe
	s_sub_co_i32 s4, s16, s4
	s_wait_alu 0xfffe
	s_sub_co_i32 s5, s4, s8
	s_cmp_ge_u32 s4, s8
	s_wait_alu 0xfffe
	s_cselect_b32 s4, s5, s4
	s_wait_alu 0xfffe
	s_sub_co_i32 s5, s4, s8
	s_cmp_ge_u32 s4, s8
	s_wait_alu 0xfffe
	s_cselect_b32 s18, s5, s4
.LBB0_4:
	s_clause 0x1
	s_load_b128 s[4:7], s[10:11], 0x0
	s_load_b64 s[20:21], s[10:11], 0x10
	s_mul_u64 s[8:9], s[8:9], s[14:15]
	s_mov_b64 s[22:23], 0
	s_wait_alu 0xfffe
	v_cmp_lt_u64_e64 s9, s[2:3], s[8:9]
	s_delay_alu instid0(VALU_DEP_1)
	s_and_b32 vcc_lo, exec_lo, s9
	s_cbranch_vccnz .LBB0_6
; %bb.5:
	v_cvt_f32_u32_e32 v1, s8
	s_sub_co_i32 s22, 0, s8
	s_delay_alu instid0(VALU_DEP_1) | instskip(NEXT) | instid1(TRANS32_DEP_1)
	v_rcp_iflag_f32_e32 v1, v1
	v_mul_f32_e32 v1, 0x4f7ffffe, v1
	s_delay_alu instid0(VALU_DEP_1) | instskip(NEXT) | instid1(VALU_DEP_1)
	v_cvt_u32_f32_e32 v1, v1
	v_readfirstlane_b32 s9, v1
	s_delay_alu instid0(VALU_DEP_1) | instskip(NEXT) | instid1(SALU_CYCLE_1)
	s_mul_i32 s22, s22, s9
	s_mul_hi_u32 s22, s9, s22
	s_delay_alu instid0(SALU_CYCLE_1)
	s_add_co_i32 s9, s9, s22
	s_wait_alu 0xfffe
	s_mul_hi_u32 s9, s2, s9
	s_wait_alu 0xfffe
	s_mul_i32 s22, s9, s8
	s_add_co_i32 s23, s9, 1
	s_sub_co_i32 s22, s2, s22
	s_delay_alu instid0(SALU_CYCLE_1)
	s_sub_co_i32 s24, s22, s8
	s_cmp_ge_u32 s22, s8
	s_cselect_b32 s9, s23, s9
	s_cselect_b32 s22, s24, s22
	s_wait_alu 0xfffe
	s_add_co_i32 s24, s9, 1
	s_cmp_ge_u32 s22, s8
	s_mov_b32 s23, 0
	s_cselect_b32 s22, s24, s9
.LBB0_6:
	v_mul_u32_u24_e32 v1, 0xa3e, v0
	s_load_b64 s[10:11], s[10:11], 0x18
	s_mul_u64 s[8:9], s[16:17], s[14:15]
	s_wait_alu 0xfffe
	s_sub_nc_u64 s[2:3], s[2:3], s[8:9]
	v_lshrrev_b32_e32 v63, 16, v1
	s_clause 0x1
	s_load_b64 s[14:15], s[0:1], 0x0
	s_load_b64 s[8:9], s[0:1], 0x50
	s_mul_u64 s[16:17], s[2:3], 25
	s_wait_kmcnt 0x0
	s_mul_u64 s[2:3], s[20:21], s[18:19]
	s_wait_alu 0xfffe
	s_mul_u64 s[18:19], s[6:7], s[16:17]
	v_mul_lo_u16 v1, v63, 25
	s_add_nc_u64 s[20:21], s[16:17], 25
	s_add_nc_u64 s[18:19], s[2:3], s[18:19]
	v_cmp_gt_u64_e64 s2, s[20:21], s[12:13]
	v_cmp_le_u64_e64 s3, s[20:21], s[12:13]
	v_sub_nc_u16 v1, v0, v1
	v_add_nc_u32_e32 v33, 5, v63
	v_add_nc_u32_e32 v34, 10, v63
	;; [unrolled: 1-line block ×3, first 2 shown]
	s_and_b32 vcc_lo, exec_lo, s2
	v_and_b32_e32 v64, 0xffff, v1
	v_add_nc_u32_e32 v36, 20, v63
	v_add_nc_u32_e32 v37, 25, v63
	;; [unrolled: 1-line block ×4, first 2 shown]
	v_add_co_u32 v45, s2, s16, v64
	s_wait_alu 0xf1ff
	v_add_co_ci_u32_e64 v46, null, s17, 0, s2
	s_mul_u64 s[10:11], s[10:11], s[22:23]
	s_mov_b32 s2, 0
	s_add_nc_u64 s[10:11], s[10:11], s[18:19]
	s_cbranch_vccnz .LBB0_8
; %bb.7:
	v_mad_co_u64_u32 v[1:2], null, s6, v64, 0
	v_mad_co_u64_u32 v[3:4], null, s4, v63, 0
	v_or_b32_e32 v11, 40, v63
	v_add_nc_u32_e32 v66, 5, v63
	s_lshl_b64 s[16:17], s[10:11], 3
	v_add_nc_u32_e32 v28, 60, v63
	s_wait_alu 0xfffe
	s_add_nc_u64 s[16:17], s[8:9], s[16:17]
	v_mad_co_u64_u32 v[5:6], null, s4, v11, 0
	v_mad_co_u64_u32 v[7:8], null, s7, v64, v[2:3]
	v_add_nc_u32_e32 v13, 45, v63
	v_add_nc_u32_e32 v43, 35, v63
	;; [unrolled: 1-line block ×4, first 2 shown]
	v_mad_co_u64_u32 v[8:9], null, s5, v63, v[4:5]
	v_mov_b32_e32 v4, v6
	v_mov_b32_e32 v2, v7
	v_mad_co_u64_u32 v[9:10], null, s4, v66, 0
	v_mad_co_u64_u32 v[47:48], null, s4, v43, 0
	s_delay_alu instid0(VALU_DEP_4) | instskip(SKIP_4) | instid1(VALU_DEP_4)
	v_mad_co_u64_u32 v[6:7], null, s5, v11, v[4:5]
	v_mov_b32_e32 v4, v8
	v_lshlrev_b64_e32 v[1:2], 3, v[1:2]
	v_mad_co_u64_u32 v[7:8], null, s4, v13, 0
	v_add_nc_u32_e32 v67, 15, v63
	v_lshlrev_b64_e32 v[3:4], 3, v[3:4]
	v_lshlrev_b64_e32 v[5:6], 3, v[5:6]
	s_wait_alu 0xfffe
	v_add_co_u32 v44, vcc_lo, s16, v1
	v_add_co_ci_u32_e32 v52, vcc_lo, s17, v2, vcc_lo
	v_mad_co_u64_u32 v[1:2], null, s5, v66, v[10:11]
	v_mov_b32_e32 v2, v8
	s_delay_alu instid0(VALU_DEP_4) | instskip(SKIP_3) | instid1(VALU_DEP_3)
	v_add_co_u32 v3, vcc_lo, v44, v3
	v_mad_co_u64_u32 v[11:12], null, s4, v65, 0
	s_wait_alu 0xfffd
	v_add_co_ci_u32_e32 v4, vcc_lo, v52, v4, vcc_lo
	v_mad_co_u64_u32 v[13:14], null, s5, v13, v[2:3]
	v_add_co_u32 v14, vcc_lo, v44, v5
	s_wait_alu 0xfffd
	v_add_co_ci_u32_e32 v15, vcc_lo, v52, v6, vcc_lo
	v_mad_co_u64_u32 v[18:19], null, s4, v67, 0
	s_delay_alu instid0(VALU_DEP_4) | instskip(SKIP_4) | instid1(VALU_DEP_4)
	v_dual_mov_b32 v8, v13 :: v_dual_add_nc_u32 v23, 55, v63
	v_add_nc_u32_e32 v13, 50, v63
	v_mad_co_u64_u32 v[49:50], null, s4, v51, 0
	v_add_nc_u32_e32 v40, 20, v63
	v_add_nc_u32_e32 v42, 30, v63
	v_mad_co_u64_u32 v[16:17], null, s4, v13, 0
	v_dual_mov_b32 v10, v1 :: v_dual_mov_b32 v1, v12
	v_add_nc_u32_e32 v32, 0x46, v63
	s_delay_alu instid0(VALU_DEP_2) | instskip(NEXT) | instid1(VALU_DEP_3)
	v_lshlrev_b64_e32 v[5:6], 3, v[9:10]
	v_mad_co_u64_u32 v[1:2], null, s5, v65, v[1:2]
	s_delay_alu instid0(VALU_DEP_3) | instskip(NEXT) | instid1(VALU_DEP_3)
	v_mad_co_u64_u32 v[30:31], null, s4, v32, 0
	v_add_co_u32 v9, vcc_lo, v44, v5
	s_wait_alu 0xfffd
	s_delay_alu instid0(VALU_DEP_4) | instskip(SKIP_2) | instid1(VALU_DEP_2)
	v_add_co_ci_u32_e32 v10, vcc_lo, v52, v6, vcc_lo
	v_lshlrev_b64_e32 v[5:6], 3, v[7:8]
	v_mov_b32_e32 v12, v1
	v_add_co_u32 v1, vcc_lo, v44, v5
	s_wait_alu 0xfffd
	s_delay_alu instid0(VALU_DEP_3) | instskip(SKIP_1) | instid1(VALU_DEP_1)
	v_add_co_ci_u32_e32 v2, vcc_lo, v52, v6, vcc_lo
	v_dual_mov_b32 v5, v17 :: v_dual_mov_b32 v6, v19
	v_mad_co_u64_u32 v[19:20], null, s5, v13, v[5:6]
	v_mad_co_u64_u32 v[20:21], null, s5, v67, v[6:7]
	;; [unrolled: 1-line block ×3, first 2 shown]
	s_clause 0x3
	global_load_b64 v[5:6], v[3:4], off
	global_load_b64 v[7:8], v[14:15], off
	;; [unrolled: 1-line block ×4, first 2 shown]
	v_mov_b32_e32 v17, v19
	v_lshlrev_b64_e32 v[11:12], 3, v[11:12]
	v_mov_b32_e32 v19, v20
	s_delay_alu instid0(VALU_DEP_2) | instskip(SKIP_1) | instid1(VALU_DEP_3)
	v_add_co_u32 v9, vcc_lo, v44, v11
	s_wait_alu 0xfffd
	v_add_co_ci_u32_e32 v10, vcc_lo, v52, v12, vcc_lo
	v_lshlrev_b64_e32 v[12:13], 3, v[16:17]
	v_mov_b32_e32 v11, v22
	s_delay_alu instid0(VALU_DEP_1)
	v_mad_co_u64_u32 v[14:15], null, s5, v23, v[11:12]
	v_lshlrev_b64_e32 v[15:16], 3, v[18:19]
	v_mad_co_u64_u32 v[17:18], null, s4, v40, 0
	v_add_co_u32 v11, vcc_lo, v44, v12
	s_wait_alu 0xfffd
	v_add_co_ci_u32_e32 v12, vcc_lo, v52, v13, vcc_lo
	v_mov_b32_e32 v22, v14
	v_add_co_u32 v19, vcc_lo, v44, v15
	v_mov_b32_e32 v13, v18
	s_wait_alu 0xfffd
	v_add_co_ci_u32_e32 v20, vcc_lo, v52, v16, vcc_lo
	v_lshlrev_b64_e32 v[14:15], 3, v[21:22]
	v_mad_co_u64_u32 v[21:22], null, s4, v28, 0
	s_delay_alu instid0(VALU_DEP_2) | instskip(SKIP_1) | instid1(VALU_DEP_3)
	v_mad_co_u64_u32 v[23:24], null, s5, v40, v[13:14]
	v_add_nc_u32_e32 v41, 25, v63
	v_mov_b32_e32 v13, v22
	v_add_co_u32 v24, vcc_lo, v44, v14
	s_wait_alu 0xfffd
	v_add_co_ci_u32_e32 v25, vcc_lo, v52, v15, vcc_lo
	v_mov_b32_e32 v18, v23
	v_mad_co_u64_u32 v[26:27], null, s4, v41, 0
	v_mad_co_u64_u32 v[22:23], null, s5, v28, v[13:14]
	s_clause 0x3
	global_load_b64 v[13:14], v[9:10], off
	global_load_b64 v[15:16], v[11:12], off
	;; [unrolled: 1-line block ×4, first 2 shown]
	v_add_nc_u32_e32 v25, 0x41, v63
	v_lshlrev_b64_e32 v[17:18], 3, v[17:18]
	v_mad_co_u64_u32 v[28:29], null, s4, v42, 0
	v_mov_b32_e32 v19, v27
	s_delay_alu instid0(VALU_DEP_4) | instskip(NEXT) | instid1(VALU_DEP_4)
	v_mad_co_u64_u32 v[23:24], null, s4, v25, 0
	v_add_co_u32 v17, vcc_lo, v44, v17
	s_delay_alu instid0(VALU_DEP_3) | instskip(SKIP_3) | instid1(VALU_DEP_3)
	v_mad_co_u64_u32 v[19:20], null, s5, v41, v[19:20]
	v_lshlrev_b64_e32 v[20:21], 3, v[21:22]
	s_wait_alu 0xfffd
	v_add_co_ci_u32_e32 v18, vcc_lo, v52, v18, vcc_lo
	v_mov_b32_e32 v27, v19
	v_mov_b32_e32 v19, v24
	s_delay_alu instid0(VALU_DEP_1)
	v_mad_co_u64_u32 v[24:25], null, s5, v25, v[19:20]
	v_add_co_u32 v19, vcc_lo, v44, v20
	s_wait_alu 0xfffd
	v_add_co_ci_u32_e32 v20, vcc_lo, v52, v21, vcc_lo
	v_mov_b32_e32 v21, v29
	v_lshlrev_b64_e32 v[25:26], 3, v[26:27]
	s_delay_alu instid0(VALU_DEP_2) | instskip(SKIP_1) | instid1(VALU_DEP_3)
	v_mad_co_u64_u32 v[21:22], null, s5, v42, v[21:22]
	v_mov_b32_e32 v22, v31
	v_add_co_u32 v25, vcc_lo, v44, v25
	s_wait_alu 0xfffd
	s_delay_alu instid0(VALU_DEP_4) | instskip(NEXT) | instid1(VALU_DEP_3)
	v_add_co_ci_u32_e32 v26, vcc_lo, v52, v26, vcc_lo
	v_mad_co_u64_u32 v[31:32], null, s5, v32, v[22:23]
	v_lshlrev_b64_e32 v[23:24], 3, v[23:24]
	v_dual_mov_b32 v22, v48 :: v_dual_mov_b32 v29, v21
	s_delay_alu instid0(VALU_DEP_1) | instskip(SKIP_2) | instid1(VALU_DEP_4)
	v_mad_co_u64_u32 v[21:22], null, s5, v43, v[22:23]
	v_mov_b32_e32 v22, v50
	v_add_co_u32 v23, vcc_lo, v44, v23
	v_lshlrev_b64_e32 v[27:28], 3, v[28:29]
	v_lshlrev_b64_e32 v[29:30], 3, v[30:31]
	s_wait_alu 0xfffd
	v_add_co_ci_u32_e32 v24, vcc_lo, v52, v24, vcc_lo
	v_mad_co_u64_u32 v[50:51], null, s5, v51, v[22:23]
	v_mov_b32_e32 v48, v21
	v_add_co_u32 v27, vcc_lo, v44, v27
	s_wait_alu 0xfffd
	v_add_co_ci_u32_e32 v28, vcc_lo, v52, v28, vcc_lo
	s_delay_alu instid0(VALU_DEP_3) | instskip(SKIP_4) | instid1(VALU_DEP_4)
	v_lshlrev_b64_e32 v[21:22], 3, v[47:48]
	v_add_co_u32 v47, vcc_lo, v44, v29
	s_wait_alu 0xfffd
	v_add_co_ci_u32_e32 v48, vcc_lo, v52, v30, vcc_lo
	v_lshlrev_b64_e32 v[29:30], 3, v[49:50]
	v_add_co_u32 v49, vcc_lo, v44, v21
	s_wait_alu 0xfffd
	v_add_co_ci_u32_e32 v50, vcc_lo, v52, v22, vcc_lo
	s_delay_alu instid0(VALU_DEP_3)
	v_add_co_u32 v51, vcc_lo, v44, v29
	s_wait_alu 0xfffd
	v_add_co_ci_u32_e32 v52, vcc_lo, v52, v30, vcc_lo
	s_clause 0x7
	global_load_b64 v[29:30], v[17:18], off
	global_load_b64 v[31:32], v[19:20], off
	;; [unrolled: 1-line block ×8, first 2 shown]
	s_and_not1_b32 vcc_lo, exec_lo, s2
	s_wait_alu 0xfffe
	s_cbranch_vccz .LBB0_9
	s_branch .LBB0_14
.LBB0_8:
                                        ; implicit-def: $vgpr1
                                        ; implicit-def: $vgpr9
                                        ; implicit-def: $vgpr21
                                        ; implicit-def: $vgpr19
                                        ; implicit-def: $vgpr17
                                        ; implicit-def: $vgpr27
                                        ; implicit-def: $vgpr23
                                        ; implicit-def: $vgpr25
                                        ; implicit-def: $vgpr31
                                        ; implicit-def: $vgpr29
                                        ; implicit-def: $vgpr11
                                        ; implicit-def: $vgpr15
                                        ; implicit-def: $vgpr13
                                        ; implicit-def: $vgpr3
                                        ; implicit-def: $vgpr7
                                        ; implicit-def: $vgpr5
                                        ; implicit-def: $vgpr66
                                        ; implicit-def: $vgpr65
                                        ; implicit-def: $vgpr67
                                        ; implicit-def: $vgpr40
                                        ; implicit-def: $vgpr41
                                        ; implicit-def: $vgpr42
                                        ; implicit-def: $vgpr43
.LBB0_9:
	s_mov_b32 s2, exec_lo
                                        ; implicit-def: $vgpr66
                                        ; implicit-def: $vgpr65
                                        ; implicit-def: $vgpr67
                                        ; implicit-def: $vgpr40
                                        ; implicit-def: $vgpr41
                                        ; implicit-def: $vgpr42
                                        ; implicit-def: $vgpr43
	v_cmpx_le_u64_e64 s[12:13], v[45:46]
	s_wait_alu 0xfffe
	s_xor_b32 s2, exec_lo, s2
; %bb.10:
	v_add_nc_u32_e32 v66, 5, v63
	v_add_nc_u32_e32 v65, 10, v63
	;; [unrolled: 1-line block ×7, first 2 shown]
                                        ; implicit-def: $vgpr33
                                        ; implicit-def: $vgpr34
                                        ; implicit-def: $vgpr35
                                        ; implicit-def: $vgpr36
                                        ; implicit-def: $vgpr37
                                        ; implicit-def: $vgpr38
                                        ; implicit-def: $vgpr39
; %bb.11:
	s_wait_alu 0xfffe
	s_or_saveexec_b32 s2, s2
                                        ; implicit-def: $vgpr1
                                        ; implicit-def: $vgpr9
                                        ; implicit-def: $vgpr21
                                        ; implicit-def: $vgpr19
                                        ; implicit-def: $vgpr17
                                        ; implicit-def: $vgpr27
                                        ; implicit-def: $vgpr23
                                        ; implicit-def: $vgpr25
                                        ; implicit-def: $vgpr31
                                        ; implicit-def: $vgpr29
                                        ; implicit-def: $vgpr11
                                        ; implicit-def: $vgpr15
                                        ; implicit-def: $vgpr13
                                        ; implicit-def: $vgpr3
                                        ; implicit-def: $vgpr7
                                        ; implicit-def: $vgpr5
	s_wait_alu 0xfffe
	s_xor_b32 exec_lo, exec_lo, s2
	s_cbranch_execz .LBB0_13
; %bb.12:
	s_wait_loadcnt 0xc
	v_mad_co_u64_u32 v[1:2], null, s6, v64, 0
	v_mad_co_u64_u32 v[3:4], null, s4, v63, 0
	s_wait_loadcnt 0xb
	v_or_b32_e32 v13, 40, v63
	v_mad_co_u64_u32 v[5:6], null, s4, v33, 0
	v_add_nc_u32_e32 v14, 45, v63
	s_wait_loadcnt 0x1
	v_add_nc_u32_e32 v17, 50, v63
	v_mad_co_u64_u32 v[7:8], null, s4, v13, 0
	v_mad_co_u64_u32 v[9:10], null, s7, v64, v[2:3]
	v_mov_b32_e32 v2, v6
	v_mad_co_u64_u32 v[10:11], null, s5, v63, v[4:5]
	s_delay_alu instid0(VALU_DEP_4) | instskip(NEXT) | instid1(VALU_DEP_3)
	v_dual_mov_b32 v4, v8 :: v_dual_add_nc_u32 v21, 55, v63
	v_mad_co_u64_u32 v[11:12], null, s5, v33, v[2:3]
	v_mov_b32_e32 v2, v9
	s_wait_loadcnt 0x0
	s_delay_alu instid0(VALU_DEP_3)
	v_mad_co_u64_u32 v[19:20], null, s4, v21, 0
	v_mad_co_u64_u32 v[8:9], null, s5, v13, v[4:5]
	v_mov_b32_e32 v4, v10
	v_lshlrev_b64_e32 v[1:2], 3, v[1:2]
	s_lshl_b64 s[16:17], s[10:11], 3
	v_mad_co_u64_u32 v[9:10], null, s4, v14, 0
	s_wait_alu 0xfffe
	s_add_nc_u64 s[16:17], s[8:9], s[16:17]
	v_lshlrev_b64_e32 v[3:4], 3, v[3:4]
	s_wait_alu 0xfffe
	v_add_co_u32 v49, vcc_lo, s16, v1
	v_mov_b32_e32 v6, v11
	s_wait_alu 0xfffd
	v_add_co_ci_u32_e32 v50, vcc_lo, s17, v2, vcc_lo
	s_delay_alu instid0(VALU_DEP_3) | instskip(SKIP_2) | instid1(VALU_DEP_3)
	v_add_co_u32 v1, vcc_lo, v49, v3
	v_mov_b32_e32 v3, v10
	s_wait_alu 0xfffd
	v_add_co_ci_u32_e32 v2, vcc_lo, v50, v4, vcc_lo
	v_lshlrev_b64_e32 v[4:5], 3, v[5:6]
	v_lshlrev_b64_e32 v[7:8], 3, v[7:8]
	v_mad_co_u64_u32 v[23:24], null, s4, v37, 0
	v_mad_co_u64_u32 v[27:28], null, s4, v38, 0
	s_delay_alu instid0(VALU_DEP_4)
	v_mad_co_u64_u32 v[10:11], null, s5, v14, v[3:4]
	v_mad_co_u64_u32 v[11:12], null, s4, v34, 0
	;; [unrolled: 1-line block ×3, first 2 shown]
	v_add_co_u32 v7, vcc_lo, v49, v7
	s_wait_alu 0xfffd
	v_add_co_ci_u32_e32 v8, vcc_lo, v50, v8, vcc_lo
	s_delay_alu instid0(VALU_DEP_4)
	v_mov_b32_e32 v3, v12
	v_add_co_u32 v15, vcc_lo, v49, v4
	v_dual_mov_b32 v4, v14 :: v_dual_add_nc_u32 v25, 60, v63
	s_wait_alu 0xfffd
	v_add_co_ci_u32_e32 v16, vcc_lo, v50, v5, vcc_lo
	v_lshlrev_b64_e32 v[5:6], 3, v[9:10]
	s_delay_alu instid0(VALU_DEP_3)
	v_mad_co_u64_u32 v[9:10], null, s5, v34, v[3:4]
	v_add_nc_u32_e32 v29, 0x41, v63
	v_add_nc_u32_e32 v40, 0x46, v63
	v_mad_co_u64_u32 v[31:32], null, s4, v39, 0
	v_mad_co_u64_u32 v[3:4], null, s5, v17, v[4:5]
	v_mov_b32_e32 v12, v9
	v_mad_co_u64_u32 v[9:10], null, s4, v35, 0
	v_add_co_u32 v17, vcc_lo, v49, v5
	s_delay_alu instid0(VALU_DEP_3)
	v_lshlrev_b64_e32 v[11:12], 3, v[11:12]
	s_wait_alu 0xfffd
	v_add_co_ci_u32_e32 v18, vcc_lo, v50, v6, vcc_lo
	v_mov_b32_e32 v14, v3
	s_clause 0x3
	global_load_b64 v[5:6], v[1:2], off
	global_load_b64 v[7:8], v[7:8], off
	;; [unrolled: 1-line block ×4, first 2 shown]
	v_mov_b32_e32 v15, v20
	v_mad_co_u64_u32 v[16:17], null, s5, v35, v[10:11]
	v_lshlrev_b64_e32 v[13:14], 3, v[13:14]
	v_add_co_u32 v11, vcc_lo, v49, v11
	s_wait_alu 0xfffd
	v_add_co_ci_u32_e32 v12, vcc_lo, v50, v12, vcc_lo
	v_add_nc_u32_e32 v51, 0x4b, v63
	v_mad_co_u64_u32 v[17:18], null, s5, v21, v[15:16]
	v_mad_co_u64_u32 v[21:22], null, s4, v36, 0
	v_mov_b32_e32 v10, v16
	v_add_co_u32 v15, vcc_lo, v49, v13
	s_wait_alu 0xfffd
	v_add_co_ci_u32_e32 v16, vcc_lo, v50, v14, vcc_lo
	s_delay_alu instid0(VALU_DEP_4) | instskip(SKIP_3) | instid1(VALU_DEP_4)
	v_dual_mov_b32 v20, v17 :: v_dual_mov_b32 v13, v22
	v_lshlrev_b64_e32 v[9:10], 3, v[9:10]
	v_mov_b32_e32 v65, v34
	v_mov_b32_e32 v67, v35
	v_lshlrev_b64_e32 v[17:18], 3, v[19:20]
	v_mad_co_u64_u32 v[19:20], null, s4, v25, 0
	v_mad_co_u64_u32 v[13:14], null, s5, v36, v[13:14]
	v_add_co_u32 v9, vcc_lo, v49, v9
	s_wait_alu 0xfffd
	v_add_co_ci_u32_e32 v10, vcc_lo, v50, v10, vcc_lo
	s_delay_alu instid0(VALU_DEP_4)
	v_mov_b32_e32 v14, v20
	v_add_co_u32 v17, vcc_lo, v49, v17
	v_mov_b32_e32 v22, v13
	s_wait_alu 0xfffd
	v_add_co_ci_u32_e32 v18, vcc_lo, v50, v18, vcc_lo
	v_mad_co_u64_u32 v[25:26], null, s5, v25, v[14:15]
	s_clause 0x3
	global_load_b64 v[13:14], v[11:12], off
	global_load_b64 v[15:16], v[15:16], off
	;; [unrolled: 1-line block ×4, first 2 shown]
	v_lshlrev_b64_e32 v[17:18], 3, v[21:22]
	v_dual_mov_b32 v21, v24 :: v_dual_mov_b32 v66, v33
	v_mov_b32_e32 v20, v25
	v_mad_co_u64_u32 v[25:26], null, s4, v29, 0
	s_delay_alu instid0(VALU_DEP_3) | instskip(NEXT) | instid1(VALU_DEP_3)
	v_mad_co_u64_u32 v[21:22], null, s5, v37, v[21:22]
	v_lshlrev_b64_e32 v[19:20], 3, v[19:20]
	v_add_co_u32 v17, vcc_lo, v49, v17
	s_wait_alu 0xfffd
	v_add_co_ci_u32_e32 v18, vcc_lo, v50, v18, vcc_lo
	v_mov_b32_e32 v22, v26
	v_mov_b32_e32 v24, v21
	v_add_co_u32 v19, vcc_lo, v49, v19
	s_wait_alu 0xfffd
	v_add_co_ci_u32_e32 v20, vcc_lo, v50, v20, vcc_lo
	v_mad_co_u64_u32 v[21:22], null, s5, v29, v[22:23]
	v_mad_co_u64_u32 v[29:30], null, s4, v40, 0
	v_lshlrev_b64_e32 v[23:24], 3, v[23:24]
	v_mov_b32_e32 v22, v28
	s_delay_alu instid0(VALU_DEP_4) | instskip(NEXT) | instid1(VALU_DEP_2)
	v_mov_b32_e32 v26, v21
	v_mad_co_u64_u32 v[21:22], null, s5, v38, v[22:23]
	v_mov_b32_e32 v22, v30
	s_delay_alu instid0(VALU_DEP_3) | instskip(NEXT) | instid1(VALU_DEP_2)
	v_lshlrev_b64_e32 v[25:26], 3, v[25:26]
	v_mad_co_u64_u32 v[40:41], null, s5, v40, v[22:23]
	v_mad_co_u64_u32 v[41:42], null, s4, v51, 0
	v_add_co_u32 v22, vcc_lo, v49, v23
	s_wait_alu 0xfffd
	v_add_co_ci_u32_e32 v23, vcc_lo, v50, v24, vcc_lo
	v_mov_b32_e32 v24, v32
	s_delay_alu instid0(VALU_DEP_4) | instskip(SKIP_1) | instid1(VALU_DEP_3)
	v_dual_mov_b32 v28, v21 :: v_dual_mov_b32 v21, v42
	v_add_co_u32 v47, vcc_lo, v49, v25
	v_mad_co_u64_u32 v[43:44], null, s5, v39, v[24:25]
	s_wait_alu 0xfffd
	v_add_co_ci_u32_e32 v48, vcc_lo, v50, v26, vcc_lo
	v_lshlrev_b64_e32 v[24:25], 3, v[27:28]
	v_mad_co_u64_u32 v[26:27], null, s5, v51, v[21:22]
	v_mov_b32_e32 v30, v40
	v_mov_b32_e32 v32, v43
	s_delay_alu instid0(VALU_DEP_4) | instskip(NEXT) | instid1(VALU_DEP_3)
	v_add_co_u32 v43, vcc_lo, v49, v24
	v_lshlrev_b64_e32 v[27:28], 3, v[29:30]
	v_mov_b32_e32 v42, v26
	s_wait_alu 0xfffd
	v_add_co_ci_u32_e32 v44, vcc_lo, v50, v25, vcc_lo
	v_lshlrev_b64_e32 v[24:25], 3, v[31:32]
	s_delay_alu instid0(VALU_DEP_4) | instskip(SKIP_3) | instid1(VALU_DEP_4)
	v_add_co_u32 v27, vcc_lo, v49, v27
	v_lshlrev_b64_e32 v[29:30], 3, v[41:42]
	s_wait_alu 0xfffd
	v_add_co_ci_u32_e32 v28, vcc_lo, v50, v28, vcc_lo
	v_add_co_u32 v40, vcc_lo, v49, v24
	s_wait_alu 0xfffd
	v_add_co_ci_u32_e32 v41, vcc_lo, v50, v25, vcc_lo
	v_add_co_u32 v49, vcc_lo, v49, v29
	s_wait_alu 0xfffd
	v_add_co_ci_u32_e32 v50, vcc_lo, v50, v30, vcc_lo
	s_clause 0x7
	global_load_b64 v[29:30], v[17:18], off
	global_load_b64 v[31:32], v[19:20], off
	;; [unrolled: 1-line block ×8, first 2 shown]
	v_dual_mov_b32 v43, v39 :: v_dual_mov_b32 v40, v36
	v_dual_mov_b32 v41, v37 :: v_dual_mov_b32 v42, v38
.LBB0_13:
	s_or_b32 exec_lo, exec_lo, s2
.LBB0_14:
	s_wait_loadcnt 0xc
	v_dual_sub_f32 v33, v3, v1 :: v_dual_sub_f32 v34, v4, v2
	v_dual_sub_f32 v7, v5, v7 :: v_dual_sub_f32 v8, v6, v8
	v_lshlrev_b32_e32 v1, 3, v64
	s_delay_alu instid0(VALU_DEP_3) | instskip(NEXT) | instid1(VALU_DEP_4)
	v_fma_f32 v2, v3, 2.0, -v33
	v_fma_f32 v3, v4, 2.0, -v34
	v_mul_u32_u24_e32 v4, 0x190, v63
	v_mul_i32_i24_e32 v35, 0x190, v66
	s_wait_loadcnt 0xa
	v_dual_sub_f32 v15, v13, v15 :: v_dual_sub_f32 v16, v14, v16
	v_mul_i32_i24_e32 v36, 0x190, v65
	v_fma_f32 v5, v5, 2.0, -v7
	v_fma_f32 v6, v6, 2.0, -v8
	v_add3_u32 v4, 0, v4, v1
	v_add3_u32 v35, 0, v35, v1
	v_fma_f32 v13, v13, 2.0, -v15
	v_fma_f32 v14, v14, 2.0, -v16
	v_add3_u32 v36, 0, v36, v1
	s_wait_loadcnt 0x8
	v_dual_sub_f32 v9, v11, v9 :: v_dual_sub_f32 v10, v12, v10
	ds_store_2addr_b64 v4, v[5:6], v[7:8] offset1:25
	ds_store_2addr_b64 v35, v[2:3], v[33:34] offset1:25
	;; [unrolled: 1-line block ×3, first 2 shown]
	v_mul_i32_i24_e32 v2, 0x190, v67
	s_wait_loadcnt 0x6
	v_dual_sub_f32 v31, v29, v31 :: v_dual_sub_f32 v32, v30, v32
	v_mul_i32_i24_e32 v3, 0x190, v40
	s_wait_loadcnt 0x4
	v_dual_sub_f32 v21, v25, v21 :: v_dual_sub_f32 v22, v26, v22
	;; [unrolled: 3-line block ×4, first 2 shown]
	v_mul_i32_i24_e32 v6, 0x190, v43
	v_fma_f32 v11, v11, 2.0, -v9
	v_fma_f32 v12, v12, 2.0, -v10
	v_add3_u32 v2, 0, v2, v1
	v_fma_f32 v29, v29, 2.0, -v31
	v_fma_f32 v30, v30, 2.0, -v32
	v_add3_u32 v3, 0, v3, v1
	;; [unrolled: 3-line block ×5, first 2 shown]
	ds_store_2addr_b64 v2, v[11:12], v[9:10] offset1:25
	ds_store_2addr_b64 v3, v[29:30], v[31:32] offset1:25
	;; [unrolled: 1-line block ×5, first 2 shown]
	v_and_b32_e32 v2, 1, v63
	v_and_b32_e32 v3, 1, v66
	global_wb scope:SCOPE_SE
	s_wait_dscnt 0x0
	s_barrier_signal -1
	s_barrier_wait -1
	v_lshlrev_b32_e32 v4, 3, v2
	v_lshlrev_b32_e32 v6, 3, v3
	global_inv scope:SCOPE_SE
	v_mul_i32_i24_e32 v9, 0xc8, v65
	v_mul_i32_i24_e32 v11, 0xc8, v40
	s_clause 0x1
	global_load_b64 v[14:15], v4, s[14:15]
	global_load_b64 v[18:19], v6, s[14:15]
	v_and_b32_e32 v5, 1, v67
	v_and_b32_e32 v7, 1, v41
	v_lshlrev_b32_e32 v31, 1, v41
	v_mul_i32_i24_e32 v12, 0xc8, v41
	v_mul_i32_i24_e32 v10, 0xc8, v67
	v_lshlrev_b32_e32 v4, 3, v5
	v_lshlrev_b32_e32 v8, 3, v7
	v_mul_i32_i24_e32 v13, 0xc8, v42
	v_mul_i32_i24_e32 v16, 0xc8, v43
	v_lshlrev_b32_e32 v26, 1, v63
	global_load_b64 v[20:21], v4, s[14:15]
	v_and_b32_e32 v6, 1, v43
	v_lshlrev_b32_e32 v29, 1, v67
	v_lshlrev_b32_e32 v30, 1, v40
	;; [unrolled: 1-line block ×3, first 2 shown]
	v_and_b32_e32 v34, 3, v63
	v_lshlrev_b32_e32 v4, 3, v6
	s_clause 0x1
	global_load_b64 v[22:23], v8, s[14:15]
	global_load_b64 v[24:25], v4, s[14:15]
	v_mul_u32_u24_e32 v4, 0xc8, v63
	v_mul_i32_i24_e32 v8, 0xc8, v66
	v_lshlrev_b32_e32 v33, 1, v43
	v_lshlrev_b32_e32 v27, 1, v66
	;; [unrolled: 1-line block ×3, first 2 shown]
	v_add3_u32 v72, 0, v4, v1
	v_add3_u32 v73, 0, v8, v1
	v_add3_u32 v74, 0, v9, v1
	v_and_or_b32 v7, 0x3ffc, v31, v7
	v_and_or_b32 v6, 0x3ffc, v33, v6
	v_add_nc_u32_e32 v76, 0x2400, v72
	v_add3_u32 v54, 0, v11, v1
	v_add3_u32 v4, 0, v12, v1
	;; [unrolled: 1-line block ×5, first 2 shown]
	v_and_or_b32 v10, v26, 12, v2
	v_and_or_b32 v3, 0x3ffc, v27, v3
	;; [unrolled: 1-line block ×6, first 2 shown]
	v_mul_u32_u24_e32 v16, 3, v34
	ds_load_b64 v[26:27], v73
	ds_load_b64 v[28:29], v72 offset:15000
	ds_load_b64 v[30:31], v72
	ds_load_b64 v[32:33], v17
	ds_load_b64 v[34:35], v74
	ds_load_b64 v[36:37], v54
	ds_load_b64 v[38:39], v4
	ds_load_b64 v[40:41], v8
	ds_load_b64 v[42:43], v9
	v_mul_u32_u24_e32 v58, 0xc8, v7
	v_mul_u32_u24_e32 v60, 0xc8, v6
	ds_load_2addr_b64 v[6:9], v76 offset0:98 offset1:223
	v_add_nc_u32_e32 v75, 0x1c00, v72
	v_mul_u32_u24_e32 v51, 0xc8, v3
	v_mul_u32_u24_e32 v56, 0xc8, v5
	;; [unrolled: 1-line block ×4, first 2 shown]
	ds_load_2addr_b64 v[2:5], v75 offset0:104 offset1:229
	v_mul_u32_u24_e32 v57, 0xc8, v12
	v_mul_u32_u24_e32 v59, 0xc8, v13
	v_cmp_gt_u32_e64 s2, 25, v0
	s_mov_b32 s16, 0
	s_wait_loadcnt_dscnt 0x401
	v_mul_f32_e32 v69, v15, v7
	v_mul_f32_e32 v70, v15, v6
	s_wait_dscnt 0x0
	v_mul_f32_e32 v61, v15, v3
	v_mul_f32_e32 v62, v15, v2
	s_wait_loadcnt 0x3
	v_dual_mul_f32 v68, v19, v5 :: v_dual_fmac_f32 v69, v14, v6
	v_add_nc_u32_e32 v77, 0x2c00, v72
	v_mul_f32_e32 v19, v19, v4
	v_fmac_f32_e32 v61, v14, v2
	v_fma_f32 v3, v14, v3, -v62
	v_sub_f32_e32 v6, v34, v69
	s_wait_loadcnt 0x2
	v_dual_fmac_f32 v68, v18, v4 :: v_dual_mul_f32 v71, v21, v9
	v_dual_mul_f32 v21, v21, v8 :: v_dual_and_b32 v44, 3, v66
	v_fma_f32 v5, v18, v5, -v19
	v_fma_f32 v7, v14, v7, -v70
	s_delay_alu instid0(VALU_DEP_4) | instskip(SKIP_3) | instid1(VALU_DEP_4)
	v_fmac_f32_e32 v71, v20, v8
	v_add_nc_u32_e32 v55, 0x3000, v72
	v_fma_f32 v9, v20, v9, -v21
	v_dual_sub_f32 v3, v31, v3 :: v_dual_lshlrev_b32 v16, 3, v16
	v_sub_f32_e32 v8, v32, v71
	ds_load_2addr_b32 v[47:48], v77 offset0:184 offset1:185
	ds_load_2addr_b64 v[10:13], v55 offset0:89 offset1:214
	s_wait_loadcnt 0x0
	v_mul_f32_e32 v82, v29, v25
	v_mul_f32_e32 v25, v28, v25
	v_sub_f32_e32 v2, v30, v61
	v_dual_sub_f32 v4, v26, v68 :: v_dual_sub_f32 v7, v35, v7
	s_delay_alu instid0(VALU_DEP_4) | instskip(NEXT) | instid1(VALU_DEP_4)
	v_dual_fmac_f32 v82, v28, v24 :: v_dual_sub_f32 v5, v27, v5
	v_fma_f32 v20, v29, v24, -v25
	v_mul_u32_u24_e32 v49, 3, v44
	v_add3_u32 v50, 0, v50, v1
	v_fma_f32 v21, v31, 2.0, -v3
	v_add3_u32 v51, 0, v51, v1
	v_add3_u32 v52, 0, v52, v1
	v_fma_f32 v24, v34, 2.0, -v6
	v_fma_f32 v25, v35, 2.0, -v7
	v_add3_u32 v56, 0, v56, v1
	v_add3_u32 v57, 0, v57, v1
	global_wb scope:SCOPE_SE
	s_wait_dscnt 0x0
	v_mul_f32_e32 v78, v48, v15
	v_mul_f32_e32 v79, v15, v47
	;; [unrolled: 1-line block ×6, first 2 shown]
	v_fmac_f32_e32 v78, v14, v47
	v_fma_f32 v18, v48, v14, -v79
	v_dual_fmac_f32 v80, v10, v22 :: v_dual_and_b32 v53, 3, v65
	v_fma_f32 v19, v11, v22, -v23
	v_fmac_f32_e32 v81, v12, v14
	v_fma_f32 v15, v13, v14, -v15
	v_dual_sub_f32 v9, v33, v9 :: v_dual_sub_f32 v10, v36, v78
	v_dual_sub_f32 v11, v37, v18 :: v_dual_sub_f32 v12, v38, v80
	s_delay_alu instid0(VALU_DEP_4) | instskip(NEXT) | instid1(VALU_DEP_4)
	v_dual_sub_f32 v13, v39, v19 :: v_dual_sub_f32 v14, v40, v81
	v_dual_sub_f32 v15, v41, v15 :: v_dual_sub_f32 v18, v42, v82
	v_sub_f32_e32 v19, v43, v20
	v_fma_f32 v20, v30, 2.0, -v2
	v_fma_f32 v22, v26, 2.0, -v4
	;; [unrolled: 1-line block ×7, first 2 shown]
	s_barrier_signal -1
	s_barrier_wait -1
	global_inv scope:SCOPE_SE
	v_add3_u32 v58, 0, v58, v1
	v_add3_u32 v59, 0, v59, v1
	;; [unrolled: 1-line block ×3, first 2 shown]
	v_fma_f32 v30, v38, 2.0, -v12
	v_fma_f32 v31, v39, 2.0, -v13
	;; [unrolled: 1-line block ×6, first 2 shown]
	ds_store_2addr_b64 v50, v[20:21], v[2:3] offset1:50
	ds_store_2addr_b64 v51, v[22:23], v[4:5] offset1:50
	;; [unrolled: 1-line block ×8, first 2 shown]
	v_lshlrev_b32_e32 v10, 3, v49
	global_wb scope:SCOPE_SE
	s_wait_dscnt 0x0
	s_barrier_signal -1
	s_barrier_wait -1
	global_inv scope:SCOPE_SE
	global_load_b64 v[14:15], v16, s[14:15] offset:32
	v_mul_u32_u24_e32 v11, 3, v53
	s_clause 0x1
	global_load_b128 v[2:5], v16, s[14:15] offset:16
	global_load_b128 v[6:9], v10, s[14:15] offset:16
	v_and_b32_e32 v24, 3, v67
	v_lshlrev_b32_e32 v68, 2, v65
	v_lshlrev_b32_e32 v16, 3, v11
	s_clause 0x1
	global_load_b64 v[47:48], v10, s[14:15] offset:32
	global_load_b128 v[10:13], v16, s[14:15] offset:16
	v_mul_u32_u24_e32 v18, 3, v24
	v_and_or_b32 v26, 0x7ff0, v68, v53
	v_lshlrev_b32_e32 v69, 2, v66
	v_add_nc_u32_e32 v32, 0x1000, v72
	s_delay_alu instid0(VALU_DEP_4)
	v_lshlrev_b32_e32 v18, 3, v18
	s_clause 0x2
	global_load_b64 v[49:50], v16, s[14:15] offset:32
	global_load_b128 v[20:23], v18, s[14:15] offset:16
	global_load_b64 v[51:52], v18, s[14:15] offset:32
	ds_load_b64 v[53:54], v54
	v_add_nc_u32_e32 v28, 0x2800, v72
	v_and_or_b32 v25, 0x7ff0, v69, v44
	v_mul_u32_u24_e32 v26, 0xc8, v26
	ds_load_2addr_b64 v[32:35], v32 offset0:113 offset1:238
	v_add_nc_u32_e32 v36, 0x2000, v72
	ds_load_2addr_b64 v[28:31], v28 offset0:95 offset1:220
	v_lshlrev_b32_e32 v18, 2, v67
	v_add_nc_u32_e32 v27, 0x1800, v72
	v_mul_u32_u24_e32 v25, 0xc8, v25
	v_add3_u32 v81, 0, v26, v1
	v_add_nc_u32_e32 v44, 0xc00, v72
	s_delay_alu instid0(VALU_DEP_3)
	v_add3_u32 v80, 0, v25, v1
	s_wait_loadcnt_dscnt 0x700
	v_mul_f32_e32 v88, v15, v31
	v_mul_f32_e32 v15, v15, v30
	v_and_or_b32 v24, 0x7ff0, v18, v24
	s_wait_loadcnt 0x5
	v_mul_f32_e32 v89, v7, v33
	v_dual_mul_f32 v7, v7, v32 :: v_dual_fmac_f32 v88, v14, v30
	v_fma_f32 v14, v14, v31, -v15
	v_mul_u32_u24_e32 v24, 0xc8, v24
	s_delay_alu instid0(VALU_DEP_1) | instskip(SKIP_3) | instid1(VALU_DEP_2)
	v_add3_u32 v82, 0, v24, v1
	ds_load_2addr_b64 v[24:27], v27 offset0:107 offset1:232
	v_lshlrev_b32_e32 v19, 2, v63
	v_add_nc_u32_e32 v86, 0x400, v82
	v_or_b32_e32 v16, v19, v63
	s_delay_alu instid0(VALU_DEP_1) | instskip(NEXT) | instid1(VALU_DEP_1)
	v_and_b32_e32 v16, 19, v16
	v_mul_u32_u24_e32 v16, 0xc8, v16
	s_delay_alu instid0(VALU_DEP_1) | instskip(SKIP_4) | instid1(VALU_DEP_3)
	v_add3_u32 v83, 0, v16, v1
	s_wait_dscnt 0x0
	v_mul_f32_e32 v16, v5, v27
	v_mul_f32_e32 v5, v5, v26
	;; [unrolled: 1-line block ×3, first 2 shown]
	v_dual_mul_f32 v3, v3, v53 :: v_dual_fmac_f32 v16, v4, v26
	s_delay_alu instid0(VALU_DEP_3)
	v_fma_f32 v4, v4, v27, -v5
	s_wait_loadcnt 0x3
	v_mul_f32_e32 v27, v35, v11
	ds_load_2addr_b64 v[36:39], v36 offset0:101 offset1:226
	ds_load_2addr_b64 v[40:43], v55 offset0:89 offset1:214
	ds_load_b64 v[55:56], v74
	ds_load_b64 v[57:58], v73
	ds_load_b64 v[59:60], v72 offset:15000
	ds_load_b64 v[61:62], v72
	ds_load_b64 v[70:71], v17
	v_fmac_f32_e32 v1, v2, v53
	v_fma_f32 v2, v2, v54, -v3
	v_add_nc_u32_e32 v79, 0x3400, v72
	v_add_nc_u32_e32 v85, 0x400, v81
	v_dual_mul_f32 v11, v34, v11 :: v_dual_add_nc_u32 v78, 0x1400, v72
	s_delay_alu instid0(VALU_DEP_4)
	v_sub_f32_e32 v14, v2, v14
	v_add_nc_u32_e32 v84, 0x400, v80
	v_add_nc_u32_e32 v87, 0x400, v83
	v_fmac_f32_e32 v27, v34, v10
	v_fma_f32 v10, v35, v10, -v11
	global_wb scope:SCOPE_SE
	s_wait_loadcnt_dscnt 0x0
	s_barrier_signal -1
	v_mul_f32_e32 v3, v37, v9
	v_mul_f32_e32 v9, v36, v9
	;; [unrolled: 1-line block ×5, first 2 shown]
	v_fmac_f32_e32 v3, v36, v8
	v_fmac_f32_e32 v89, v6, v32
	v_fma_f32 v6, v6, v33, -v7
	v_fma_f32 v7, v37, v8, -v9
	v_mul_f32_e32 v8, v39, v13
	v_mul_f32_e32 v9, v38, v13
	;; [unrolled: 1-line block ×3, first 2 shown]
	v_dual_mul_f32 v32, v42, v50 :: v_dual_mul_f32 v11, v25, v21
	s_delay_alu instid0(VALU_DEP_4)
	v_dual_fmac_f32 v8, v38, v12 :: v_dual_mul_f32 v21, v24, v21
	v_sub_f32_e32 v16, v61, v16
	v_mul_f32_e32 v33, v29, v23
	v_mul_f32_e32 v23, v28, v23
	v_fma_f32 v26, v41, v47, -v26
	v_fma_f32 v9, v39, v12, -v9
	;; [unrolled: 1-line block ×3, first 2 shown]
	v_fmac_f32_e32 v11, v24, v20
	v_fma_f32 v20, v25, v20, -v21
	v_fma_f32 v21, v29, v22, -v23
	v_mul_f32_e32 v15, v60, v52
	v_sub_f32_e32 v23, v62, v4
	v_sub_f32_e32 v4, v1, v88
	v_dual_sub_f32 v24, v57, v3 :: v_dual_sub_f32 v3, v6, v26
	v_dual_sub_f32 v26, v55, v8 :: v_dual_fmac_f32 v33, v28, v22
	v_fma_f32 v22, v60, v51, -v30
	v_fmac_f32_e32 v13, v42, v49
	v_dual_fmac_f32 v5, v40, v47 :: v_dual_sub_f32 v8, v10, v12
	v_dual_sub_f32 v25, v58, v7 :: v_dual_sub_f32 v28, v56, v9
	v_sub_f32_e32 v30, v71, v21
	v_dual_fmac_f32 v15, v59, v51 :: v_dual_sub_f32 v12, v20, v22
	v_sub_f32_e32 v7, v27, v13
	s_delay_alu instid0(VALU_DEP_4) | instskip(SKIP_1) | instid1(VALU_DEP_4)
	v_fma_f32 v34, v58, 2.0, -v25
	v_fma_f32 v21, v6, 2.0, -v3
	v_sub_f32_e32 v9, v11, v15
	v_fma_f32 v15, v2, 2.0, -v14
	v_sub_f32_e32 v6, v28, v7
	v_fma_f32 v32, v62, 2.0, -v23
	v_dual_sub_f32 v5, v89, v5 :: v_dual_sub_f32 v2, v23, v4
	v_sub_f32_e32 v29, v70, v33
	v_fma_f32 v31, v61, 2.0, -v16
	v_fma_f32 v13, v1, 2.0, -v4
	;; [unrolled: 1-line block ×7, first 2 shown]
	v_dual_add_f32 v47, v29, v12 :: v_dual_sub_f32 v12, v34, v21
	v_dual_add_f32 v1, v16, v14 :: v_dual_sub_f32 v48, v30, v9
	v_fma_f32 v14, v89, 2.0, -v5
	v_fma_f32 v35, v55, 2.0, -v26
	v_sub_f32_e32 v4, v25, v5
	v_fma_f32 v37, v70, 2.0, -v29
	v_fma_f32 v38, v71, 2.0, -v30
	;; [unrolled: 1-line block ×3, first 2 shown]
	v_add_f32_e32 v5, v26, v8
	v_dual_sub_f32 v7, v31, v13 :: v_dual_sub_f32 v8, v32, v15
	v_fma_f32 v9, v16, 2.0, -v1
	v_dual_sub_f32 v11, v33, v14 :: v_dual_sub_f32 v16, v36, v27
	v_add_f32_e32 v3, v24, v3
	v_sub_f32_e32 v15, v35, v22
	v_fma_f32 v10, v23, 2.0, -v2
	v_dual_sub_f32 v22, v37, v39 :: v_dual_sub_f32 v23, v38, v40
	v_fma_f32 v20, v26, 2.0, -v5
	v_fma_f32 v26, v31, 2.0, -v7
	;; [unrolled: 1-line block ×12, first 2 shown]
	s_barrier_wait -1
	global_inv scope:SCOPE_SE
	v_fma_f32 v32, v37, 2.0, -v22
	v_fma_f32 v33, v38, 2.0, -v23
	ds_store_2addr_b64 v87, v[7:8], v[1:2] offset0:72 offset1:172
	ds_store_2addr_b64 v83, v[26:27], v[9:10] offset1:100
	ds_store_2addr_b64 v80, v[28:29], v[13:14] offset1:100
	ds_store_2addr_b64 v84, v[11:12], v[3:4] offset0:72 offset1:172
	ds_store_2addr_b64 v81, v[30:31], v[20:21] offset1:100
	ds_store_2addr_b64 v85, v[15:16], v[5:6] offset0:72 offset1:172
	;; [unrolled: 2-line block ×3, first 2 shown]
	global_wb scope:SCOPE_SE
	s_wait_dscnt 0x0
	s_barrier_signal -1
	s_barrier_wait -1
	global_inv scope:SCOPE_SE
	ds_load_2addr_b64 v[41:44], v44 offset0:16 offset1:141
	ds_load_2addr_b64 v[25:28], v78 offset0:10 offset1:160
	;; [unrolled: 1-line block ×6, first 2 shown]
	ds_load_b64 v[53:54], v72
	ds_load_b64 v[51:52], v73
	;; [unrolled: 1-line block ×3, first 2 shown]
                                        ; implicit-def: $vgpr56
                                        ; implicit-def: $vgpr58
                                        ; implicit-def: $vgpr60
                                        ; implicit-def: $vgpr62
	s_and_saveexec_b32 s17, s2
	s_cbranch_execz .LBB0_16
; %bb.15:
	v_lshl_add_u32 v0, v64, 3, 0
	ds_load_b64 v[47:48], v17
	ds_load_b64 v[61:62], v0 offset:6200
	ds_load_b64 v[59:60], v0 offset:9400
	;; [unrolled: 1-line block ×4, first 2 shown]
.LBB0_16:
	s_wait_alu 0xfffe
	s_or_b32 exec_lo, exec_lo, s17
	v_and_b32_e32 v0, 28, v19
	s_load_b64 s[0:1], s[0:1], 0x8
	s_and_not1_b32 vcc_lo, exec_lo, s3
	s_delay_alu instid0(VALU_DEP_1) | instskip(SKIP_2) | instid1(VALU_DEP_1)
	v_lshlrev_b32_e32 v0, 3, v0
	global_load_b128 v[71:74], v0, s[14:15] offset:112
	v_and_b32_e32 v17, 60, v69
	v_lshlrev_b32_e32 v17, 3, v17
	global_load_b128 v[75:78], v17, s[14:15] offset:112
	s_wait_loadcnt_dscnt 0x108
	v_dual_mul_f32 v90, v72, v42 :: v_dual_and_b32 v19, 60, v68
	s_delay_alu instid0(VALU_DEP_1)
	v_dual_mul_f32 v72, v72, v41 :: v_dual_lshlrev_b32 v19, 3, v19
	s_wait_dscnt 0x7
	v_mul_f32_e32 v91, v74, v28
	v_mul_f32_e32 v74, v74, v27
	v_fmac_f32_e32 v90, v71, v41
	v_fma_f32 v92, v71, v42, -v72
	v_or_b32_e32 v72, 32, v63
	v_fmac_f32_e32 v91, v73, v27
	s_clause 0x3
	global_load_b128 v[79:82], v19, s[14:15] offset:112
	global_load_b128 v[37:40], v0, s[14:15] offset:128
	;; [unrolled: 1-line block ×4, first 2 shown]
	s_wait_loadcnt 0x4
	v_dual_mul_f32 v93, v76, v44 :: v_dual_and_b32 v0, 60, v18
	v_mul_f32_e32 v41, v76, v43
	v_fma_f32 v74, v73, v28, -v74
	v_or_b32_e32 v71, 48, v63
	s_delay_alu instid0(VALU_DEP_4)
	v_lshlrev_b32_e32 v0, 3, v0
	s_clause 0x1
	global_load_b128 v[29:32], v0, s[14:15] offset:112
	global_load_b128 v[17:20], v0, s[14:15] offset:128
	v_mul_lo_u32 v0, v45, v63
	v_fma_f32 v44, v75, v44, -v41
	v_fmac_f32_e32 v93, v75, v43
	v_or_b32_e32 v73, 64, v63
	s_wait_dscnt 0x4
	s_delay_alu instid0(VALU_DEP_4) | instskip(SKIP_1) | instid1(VALU_DEP_2)
	v_dual_mul_f32 v75, v78, v14 :: v_dual_and_b32 v70, 0xff, v0
	v_lshrrev_b32_e32 v83, 5, v0
	v_dual_fmac_f32 v75, v77, v13 :: v_dual_lshlrev_b32 v70, 3, v70
	s_delay_alu instid0(VALU_DEP_2)
	v_and_b32_e32 v85, 0x7f8, v83
	s_wait_kmcnt 0x0
	s_clause 0x1
	global_load_b64 v[83:84], v70, s[0:1]
	global_load_b64 v[85:86], v85, s[0:1] offset:2048
	v_or_b32_e32 v70, 16, v63
	s_delay_alu instid0(VALU_DEP_1) | instskip(NEXT) | instid1(VALU_DEP_1)
	v_mul_lo_u32 v89, v45, v70
	v_and_b32_e32 v87, 0xff, v89
	v_lshrrev_b32_e32 v27, 5, v89
	s_delay_alu instid0(VALU_DEP_2) | instskip(NEXT) | instid1(VALU_DEP_2)
	v_lshlrev_b32_e32 v28, 3, v87
	v_and_b32_e32 v27, 0x7f8, v27
	s_clause 0x1
	global_load_b64 v[87:88], v28, s[0:1]
	global_load_b64 v[42:43], v27, s[0:1] offset:2048
	v_mul_f32_e32 v28, v78, v13
	v_mul_lo_u32 v78, v45, v72
	s_delay_alu instid0(VALU_DEP_2)
	v_fma_f32 v76, v77, v14, -v28
	s_wait_loadcnt 0x9
	v_mul_f32_e32 v27, v26, v80
	s_wait_loadcnt 0x8
	v_dual_mul_f32 v13, v25, v80 :: v_dual_mul_f32 v14, v38, v9
	v_mul_f32_e32 v28, v16, v82
	s_delay_alu instid0(VALU_DEP_3) | instskip(NEXT) | instid1(VALU_DEP_3)
	v_dual_mul_f32 v94, v40, v8 :: v_dual_fmac_f32 v27, v25, v79
	v_fma_f32 v25, v26, v79, -v13
	v_mul_f32_e32 v13, v15, v82
	s_delay_alu instid0(VALU_DEP_4)
	v_dual_fmac_f32 v28, v15, v81 :: v_dual_mul_f32 v15, v40, v7
	s_wait_loadcnt 0x6
	v_mul_f32_e32 v26, v6, v22
	v_lshrrev_b32_e32 v40, 13, v0
	v_dual_mul_f32 v0, v34, v11 :: v_dual_and_b32 v77, 15, v66
	v_fmac_f32_e32 v94, v39, v7
	v_mul_lo_u32 v79, v45, v71
	v_mul_lo_u32 v80, v45, v73
	v_mul_f32_e32 v82, v38, v10
	v_mul_f32_e32 v97, v34, v12
	v_and_b32_e32 v7, 0xff, v78
	s_wait_dscnt 0x3
	v_mul_f32_e32 v99, v36, v2
	v_fma_f32 v100, v33, v12, -v0
	v_mul_f32_e32 v0, v36, v1
	v_fmac_f32_e32 v82, v37, v9
	v_fma_f32 v16, v16, v81, -v13
	v_mul_lo_u32 v81, v45, v77
	v_fma_f32 v96, v39, v8, -v15
	v_lshrrev_b32_e32 v8, 5, v78
	v_and_b32_e32 v9, 0xff, v79
	v_fma_f32 v101, v35, v2, -v0
	v_mul_f32_e32 v0, v5, v22
	v_dual_fmac_f32 v99, v35, v1 :: v_dual_and_b32 v2, 0xff, v80
	v_lshrrev_b32_e32 v1, 5, v79
	v_fma_f32 v95, v37, v10, -v14
	v_fmac_f32_e32 v97, v33, v11
	v_lshrrev_b32_e32 v10, 5, v80
	v_fmac_f32_e32 v26, v5, v21
	v_fma_f32 v21, v6, v21, -v0
	v_and_b32_e32 v0, 0xff, v81
	v_lshlrev_b32_e32 v6, 3, v7
	v_and_b32_e32 v7, 0x7f8, v8
	v_dual_mul_f32 v33, v4, v24 :: v_dual_lshlrev_b32 v8, 3, v9
	s_wait_loadcnt 0x5
	v_dual_mul_f32 v36, v62, v30 :: v_dual_and_b32 v9, 0x7f8, v1
	v_dual_mul_f32 v1, v3, v24 :: v_dual_and_b32 v10, 0x7f8, v10
	v_or_b32_e32 v13, 16, v77
	v_lshrrev_b32_e32 v5, 5, v81
	s_delay_alu instid0(VALU_DEP_4)
	v_dual_fmac_f32 v36, v61, v29 :: v_dual_lshlrev_b32 v11, 3, v2
	v_dual_fmac_f32 v33, v3, v23 :: v_dual_lshlrev_b32 v12, 3, v0
	v_fma_f32 v22, v4, v23, -v1
	s_clause 0x1
	global_load_b64 v[0:1], v6, s[0:1]
	global_load_b64 v[2:3], v7, s[0:1] offset:2048
	v_mul_f32_e32 v4, v61, v30
	v_mul_lo_u32 v98, v45, v13
	s_wait_dscnt 0x2
	v_dual_mul_f32 v13, v59, v32 :: v_dual_and_b32 v14, 0x7f8, v5
	v_mul_f32_e32 v35, v60, v32
	v_fma_f32 v34, v62, v29, -v4
	s_clause 0x1
	global_load_b64 v[4:5], v8, s[0:1]
	global_load_b64 v[6:7], v9, s[0:1] offset:2048
	v_fma_f32 v37, v60, v31, -v13
	s_clause 0x3
	global_load_b64 v[8:9], v11, s[0:1]
	global_load_b64 v[10:11], v10, s[0:1] offset:2048
	global_load_b64 v[12:13], v12, s[0:1]
	global_load_b64 v[14:15], v14, s[0:1] offset:2048
	s_wait_loadcnt_dscnt 0xc01
	v_dual_fmac_f32 v35, v59, v31 :: v_dual_mul_f32 v38, v58, v18
	s_wait_dscnt 0x0
	v_dual_mul_f32 v18, v57, v18 :: v_dual_mul_f32 v41, v56, v20
	v_lshrrev_b32_e32 v29, 13, v89
	s_delay_alu instid0(VALU_DEP_3) | instskip(NEXT) | instid1(VALU_DEP_3)
	v_dual_fmac_f32 v38, v57, v17 :: v_dual_and_b32 v23, 0xff, v98
	v_fma_f32 v39, v58, v17, -v18
	s_wait_loadcnt 0x8
	s_delay_alu instid0(VALU_DEP_3) | instskip(SKIP_3) | instid1(VALU_DEP_4)
	v_dual_mul_f32 v58, v88, v43 :: v_dual_and_b32 v29, 0x7f8, v29
	v_lshrrev_b32_e32 v31, 13, v78
	v_mul_f32_e32 v59, v83, v86
	v_lshrrev_b32_e32 v57, 13, v80
	v_fma_f32 v62, v87, v42, -v58
	v_or_b32_e32 v78, 32, v77
	v_lshrrev_b32_e32 v24, 5, v98
	v_dual_mul_f32 v17, v55, v20 :: v_dual_lshlrev_b32 v18, 3, v23
	v_dual_mul_f32 v32, v84, v86 :: v_dual_and_b32 v23, 0x7f8, v40
	s_delay_alu instid0(VALU_DEP_4)
	v_mul_lo_u32 v78, v45, v78
	v_mul_f32_e32 v61, v87, v43
	v_and_b32_e32 v43, 0x7f8, v57
	v_lshrrev_b32_e32 v57, 13, v81
	v_dual_fmac_f32 v41, v55, v19 :: v_dual_and_b32 v20, 0x7f8, v24
	v_fma_f32 v40, v56, v19, -v17
	s_clause 0x3
	global_load_b64 v[17:18], v18, s[0:1]
	global_load_b64 v[19:20], v20, s[0:1] offset:2048
	global_load_b64 v[23:24], v23, s[0:1] offset:4096
	;; [unrolled: 1-line block ×3, first 2 shown]
	v_lshrrev_b32_e32 v55, 13, v79
	v_and_b32_e32 v57, 0x7f8, v57
	v_fma_f32 v60, v83, v85, -v32
	s_wait_loadcnt 0xa
	v_mul_f32_e32 v58, v1, v3
	v_mul_f32_e32 v3, v0, v3
	v_fmac_f32_e32 v59, v84, v85
	s_delay_alu instid0(VALU_DEP_3) | instskip(NEXT) | instid1(VALU_DEP_3)
	v_fma_f32 v0, v0, v2, -v58
	v_fmac_f32_e32 v3, v1, v2
	v_or_b32_e32 v1, 48, v77
	s_wait_loadcnt 0x8
	v_mul_f32_e32 v2, v5, v7
	s_wait_loadcnt 0x4
	v_mul_f32_e32 v80, v12, v15
	v_mul_f32_e32 v7, v4, v7
	v_and_b32_e32 v55, 0x7f8, v55
	v_mul_lo_u32 v79, v45, v1
	v_fma_f32 v1, v4, v6, -v2
	v_fmac_f32_e32 v80, v13, v14
	v_mul_f32_e32 v4, v8, v11
	v_and_b32_e32 v31, 0x7f8, v31
	s_clause 0x1
	global_load_b64 v[55:56], v55, s[0:1] offset:4096
	global_load_b64 v[57:58], v57, s[0:1] offset:4096
	v_mul_f32_e32 v2, v9, v11
	v_fmac_f32_e32 v4, v9, v10
	global_load_b64 v[31:32], v31, s[0:1] offset:4096
	v_fmac_f32_e32 v7, v5, v6
	v_and_b32_e32 v6, 0xff, v78
	v_fma_f32 v2, v8, v10, -v2
	v_lshrrev_b32_e32 v8, 5, v78
	v_fmac_f32_e32 v61, v88, v42
	global_load_b64 v[42:43], v43, s[0:1] offset:4096
	v_lshrrev_b32_e32 v5, 13, v98
	v_dual_mul_f32 v11, v13, v15 :: v_dual_lshlrev_b32 v6, 3, v6
	v_and_b32_e32 v15, 0xff, v79
	s_delay_alu instid0(VALU_DEP_2)
	v_fma_f32 v81, v12, v14, -v11
	v_and_b32_e32 v12, 0x7f8, v8
	v_and_b32_e32 v5, 0x7f8, v5
	s_wait_loadcnt 0x6
	v_mul_f32_e32 v9, v18, v20
	v_mul_f32_e32 v83, v17, v20
	s_wait_loadcnt 0x5
	v_mul_f32_e32 v14, v59, v24
	v_sub_f32_e32 v20, v92, v96
	v_fma_f32 v84, v17, v19, -v9
	s_wait_loadcnt 0x4
	v_dual_fmac_f32 v83, v18, v19 :: v_dual_mul_f32 v18, v61, v30
	s_clause 0x2
	global_load_b64 v[8:9], v5, s[0:1] offset:4096
	global_load_b64 v[10:11], v6, s[0:1]
	global_load_b64 v[12:13], v12, s[0:1] offset:2048
	v_mul_f32_e32 v5, v60, v24
	v_mul_f32_e32 v19, v62, v30
	v_sub_f32_e32 v30, v90, v91
	v_fma_f32 v18, v29, v62, -v18
	v_add_f32_e32 v6, v53, v90
	v_add_f32_e32 v17, v91, v82
	v_fmac_f32_e32 v19, v29, v61
	v_fma_f32 v14, v23, v60, -v14
	v_sub_f32_e32 v62, v74, v92
	s_wait_loadcnt 0x4
	v_mul_f32_e32 v24, v3, v32
	v_dual_mul_f32 v29, v0, v32 :: v_dual_sub_f32 v32, v94, v82
	v_fmac_f32_e32 v5, v23, v59
	v_sub_f32_e32 v59, v91, v90
	s_delay_alu instid0(VALU_DEP_4) | instskip(SKIP_3) | instid1(VALU_DEP_3)
	v_fma_f32 v24, v31, v0, -v24
	v_mul_f32_e32 v0, v7, v56
	v_dual_fmac_f32 v29, v31, v3 :: v_dual_add_f32 v30, v30, v32
	v_dual_add_f32 v3, v6, v91 :: v_dual_sub_f32 v6, v92, v74
	v_fma_f32 v60, v55, v1, -v0
	v_add_f32_e32 v0, v54, v92
	v_sub_f32_e32 v23, v74, v95
	v_sub_f32_e32 v32, v96, v95
	v_fma_f32 v85, -0.5, v17, v53
	v_sub_f32_e32 v61, v82, v94
	v_dual_add_f32 v0, v0, v74 :: v_dual_mul_f32 v31, v1, v56
	s_delay_alu instid0(VALU_DEP_4) | instskip(NEXT) | instid1(VALU_DEP_4)
	v_add_f32_e32 v6, v6, v32
	v_fmamk_f32 v32, v20, 0xbf737871, v85
	s_wait_loadcnt 0x3
	v_mul_f32_e32 v88, v2, v43
	v_add_f32_e32 v0, v0, v95
	v_fmac_f32_e32 v31, v55, v7
	v_add_f32_e32 v1, v74, v95
	v_dual_sub_f32 v7, v90, v94 :: v_dual_fmac_f32 v32, 0xbf167918, v23
	s_delay_alu instid0(VALU_DEP_4) | instskip(SKIP_2) | instid1(VALU_DEP_4)
	v_dual_sub_f32 v55, v91, v82 :: v_dual_add_f32 v0, v0, v96
	v_fmac_f32_e32 v88, v42, v4
	v_add_f32_e32 v56, v90, v94
	v_fmac_f32_e32 v32, 0x3e9e377a, v30
	v_add_f32_e32 v3, v3, v82
	v_fma_f32 v82, -0.5, v1, v54
	v_mul_f32_e32 v1, v4, v43
	v_dual_sub_f32 v17, v95, v96 :: v_dual_sub_f32 v4, v93, v75
	s_delay_alu instid0(VALU_DEP_4) | instskip(NEXT) | instid1(VALU_DEP_4)
	v_add_f32_e32 v86, v3, v94
	v_fmamk_f32 v87, v7, 0x3f737871, v82
	s_delay_alu instid0(VALU_DEP_4) | instskip(SKIP_4) | instid1(VALU_DEP_4)
	v_fma_f32 v89, v42, v2, -v1
	v_mul_f32_e32 v2, v0, v5
	v_add_f32_e32 v43, v51, v93
	v_mul_f32_e32 v1, v86, v5
	v_dual_fmac_f32 v87, 0x3f167918, v55 :: v_dual_add_f32 v74, v92, v96
	v_dual_fmac_f32 v2, v86, v14 :: v_dual_add_f32 v59, v59, v61
	s_delay_alu instid0(VALU_DEP_3) | instskip(NEXT) | instid1(VALU_DEP_3)
	v_fma_f32 v3, v0, v14, -v1
	v_dual_sub_f32 v14, v75, v93 :: v_dual_fmac_f32 v87, 0x3e9e377a, v6
	s_delay_alu instid0(VALU_DEP_4) | instskip(SKIP_1) | instid1(VALU_DEP_3)
	v_dual_mul_f32 v1, v32, v19 :: v_dual_fmac_f32 v54, -0.5, v74
	v_dual_sub_f32 v61, v44, v76 :: v_dual_add_f32 v62, v62, v17
	v_mul_f32_e32 v0, v87, v19
	v_sub_f32_e32 v5, v99, v97
	v_sub_f32_e32 v19, v97, v99
	v_add_f32_e32 v17, v44, v101
	v_fma_f32 v1, v87, v18, -v1
	v_fmac_f32_e32 v0, v32, v18
	v_add_f32_e32 v32, v76, v100
	v_add_f32_e32 v18, v52, v44
	v_sub_f32_e32 v74, v101, v100
	v_dual_add_f32 v86, v4, v5 :: v_dual_add_f32 v87, v14, v19
	v_sub_f32_e32 v4, v76, v44
	v_dual_sub_f32 v5, v100, v101 :: v_dual_sub_f32 v14, v27, v28
	v_fma_f32 v56, -0.5, v56, v53
	v_fma_f32 v90, -0.5, v32, v52
	v_dual_fmac_f32 v52, -0.5, v17 :: v_dual_sub_f32 v17, v33, v26
	v_add_f32_e32 v61, v61, v74
	s_delay_alu instid0(VALU_DEP_4)
	v_fmamk_f32 v53, v23, 0x3f737871, v56
	v_add_f32_e32 v42, v75, v97
	v_fmac_f32_e32 v56, 0xbf737871, v23
	v_add_f32_e32 v74, v14, v17
	v_lshlrev_b32_e32 v14, 3, v15
	v_dual_add_f32 v19, v43, v75 :: v_dual_add_f32 v32, v4, v5
	v_fmamk_f32 v5, v55, 0xbf737871, v54
	v_sub_f32_e32 v43, v75, v97
	v_lshrrev_b32_e32 v4, 5, v79
	s_delay_alu instid0(VALU_DEP_4)
	v_add_f32_e32 v75, v19, v97
	v_dual_fmac_f32 v85, 0x3f737871, v20 :: v_dual_fmac_f32 v54, 0x3f737871, v55
	v_dual_fmac_f32 v5, 0x3f167918, v7 :: v_dual_fmac_f32 v56, 0x3f167918, v20
	v_fma_f32 v92, -0.5, v42, v51
	v_dual_sub_f32 v42, v93, v99 :: v_dual_add_f32 v15, v18, v76
	v_fmac_f32_e32 v82, 0xbf737871, v7
	s_delay_alu instid0(VALU_DEP_4) | instskip(SKIP_3) | instid1(VALU_DEP_4)
	v_fmac_f32_e32 v5, 0x3e9e377a, v62
	v_fmac_f32_e32 v53, 0xbf167918, v20
	v_sub_f32_e32 v76, v76, v100
	v_and_b32_e32 v17, 0x7f8, v4
	v_dual_fmac_f32 v85, 0x3f167918, v23 :: v_dual_mul_f32 v4, v5, v29
	s_delay_alu instid0(VALU_DEP_4) | instskip(SKIP_3) | instid1(VALU_DEP_4)
	v_dual_fmac_f32 v53, 0x3e9e377a, v59 :: v_dual_sub_f32 v94, v16, v21
	v_or_b32_e32 v19, 64, v77
	v_lshrrev_b32_e32 v23, 13, v78
	v_dual_add_f32 v91, v15, v100 :: v_dual_fmac_f32 v82, 0xbf167918, v55
	v_dual_mul_f32 v15, v53, v29 :: v_dual_fmac_f32 v54, 0xbf167918, v7
	s_delay_alu instid0(VALU_DEP_4) | instskip(NEXT) | instid1(VALU_DEP_4)
	v_mul_lo_u32 v29, v45, v19
	v_and_b32_e32 v19, 0x7f8, v23
	v_dual_sub_f32 v23, v44, v101 :: v_dual_add_f32 v44, v93, v99
	s_delay_alu instid0(VALU_DEP_4)
	v_fmac_f32_e32 v54, 0x3e9e377a, v62
	v_fma_f32 v5, v5, v24, -v15
	v_add_f32_e32 v7, v28, v26
	v_add_f32_e32 v75, v75, v99
	v_fma_f32 v44, -0.5, v44, v51
	v_fmac_f32_e32 v82, 0x3e9e377a, v6
	v_dual_mul_f32 v6, v54, v31 :: v_dual_add_f32 v77, v91, v101
	v_dual_fmamk_f32 v78, v43, 0xbf737871, v52 :: v_dual_sub_f32 v91, v25, v22
	s_delay_alu instid0(VALU_DEP_4)
	v_fmamk_f32 v93, v76, 0x3f737871, v44
	v_fmac_f32_e32 v44, 0xbf737871, v76
	v_fmamk_f32 v51, v23, 0xbf737871, v92
	v_fmac_f32_e32 v92, 0x3f737871, v23
	v_fmac_f32_e32 v52, 0x3f737871, v43
	v_mul_f32_e32 v62, v81, v58
	v_fmac_f32_e32 v44, 0x3f167918, v23
	v_fmac_f32_e32 v51, 0xbf167918, v76
	;; [unrolled: 1-line block ×3, first 2 shown]
	v_dual_fmac_f32 v85, 0x3e9e377a, v30 :: v_dual_fmac_f32 v56, 0x3e9e377a, v59
	v_mul_f32_e32 v30, v80, v58
	s_clause 0x1
	global_load_b64 v[14:15], v14, s[0:1]
	global_load_b64 v[17:18], v17, s[0:1] offset:2048
	v_fmamk_f32 v76, v42, 0x3f737871, v90
	v_fmac_f32_e32 v90, 0xbf737871, v42
	s_wait_loadcnt 0x4
	v_dual_fmac_f32 v92, 0x3e9e377a, v86 :: v_dual_mul_f32 v55, v83, v9
	v_fmac_f32_e32 v62, v57, v80
	v_fmac_f32_e32 v76, 0x3f167918, v43
	;; [unrolled: 1-line block ×3, first 2 shown]
	v_fma_f32 v43, -0.5, v7, v49
	v_fma_f32 v80, v8, v84, -v55
	v_dual_fmac_f32 v78, 0x3f167918, v42 :: v_dual_sub_f32 v59, v28, v27
	v_fmac_f32_e32 v76, 0x3e9e377a, v61
	v_fmac_f32_e32 v90, 0x3e9e377a, v61
	v_mul_f32_e32 v61, v84, v9
	v_dual_fmamk_f32 v95, v91, 0xbf737871, v43 :: v_dual_fmac_f32 v4, v53, v24
	v_dual_fmac_f32 v43, 0x3f737871, v91 :: v_dual_and_b32 v84, 15, v65
	v_dual_fmac_f32 v93, 0xbf167918, v23 :: v_dual_fmac_f32 v52, 0xbf167918, v42
	v_add_f32_e32 v23, v27, v33
	v_fmac_f32_e32 v61, v8, v83
	v_lshrrev_b32_e32 v8, 13, v79
	v_and_b32_e32 v9, 0xff, v29
	s_wait_loadcnt 0x2
	v_dual_fmac_f32 v78, 0x3e9e377a, v32 :: v_dual_mul_f32 v79, v10, v13
	v_fma_f32 v42, -0.5, v23, v49
	v_dual_mul_f32 v23, v11, v13 :: v_dual_and_b32 v8, 0x7f8, v8
	v_dual_fmac_f32 v52, 0x3e9e377a, v32 :: v_dual_lshlrev_b32 v13, 3, v9
	global_load_b64 v[19:20], v19, s[0:1] offset:4096
	v_dual_fmac_f32 v51, 0x3e9e377a, v86 :: v_dual_fmac_f32 v44, 0x3e9e377a, v87
	v_fmac_f32_e32 v93, 0x3e9e377a, v87
	v_fma_f32 v83, v10, v12, -v23
	v_lshrrev_b32_e32 v10, 5, v29
	v_fmac_f32_e32 v79, v11, v12
	v_mul_lo_u32 v11, v45, v84
	v_mul_f32_e32 v7, v56, v31
	v_fma_f32 v81, v57, v81, -v30
	v_lshrrev_b32_e32 v12, 13, v29
	v_fmac_f32_e32 v6, v56, v60
	v_fmamk_f32 v97, v94, 0x3f737871, v42
	v_fma_f32 v7, v54, v60, -v7
	v_fmac_f32_e32 v42, 0xbf737871, v94
	v_and_b32_e32 v31, 0xff, v11
	v_lshrrev_b32_e32 v32, 5, v11
	v_fmac_f32_e32 v95, 0xbf167918, v94
	v_and_b32_e32 v12, 0x7f8, v12
	v_dual_fmac_f32 v43, 0x3f167918, v94 :: v_dual_fmac_f32 v42, 0x3f167918, v91
	s_delay_alu instid0(VALU_DEP_1)
	v_fmac_f32_e32 v43, 0x3e9e377a, v74
	s_wait_loadcnt 0x1
	v_mul_f32_e32 v87, v14, v18
	s_clause 0x1
	global_load_b64 v[8:9], v8, s[0:1] offset:4096
	global_load_b64 v[23:24], v13, s[0:1]
	v_and_b32_e32 v10, 0x7f8, v10
	v_or_b32_e32 v13, 16, v84
	v_fmac_f32_e32 v87, v15, v17
	global_load_b64 v[29:30], v10, s[0:1] offset:2048
	v_mul_f32_e32 v10, v15, v18
	v_mul_lo_u32 v86, v45, v13
	v_and_b32_e32 v13, 0x7f8, v32
	s_delay_alu instid0(VALU_DEP_3)
	v_fma_f32 v96, v14, v17, -v10
	v_lshlrev_b32_e32 v10, 3, v31
	s_clause 0x2
	global_load_b64 v[31:32], v12, s[0:1] offset:4096
	global_load_b64 v[17:18], v10, s[0:1]
	global_load_b64 v[53:54], v13, s[0:1] offset:2048
	v_dual_sub_f32 v13, v26, v33 :: v_dual_and_b32 v12, 0xff, v86
	v_lshrrev_b32_e32 v14, 5, v86
	v_lshrrev_b32_e32 v10, 13, v11
	s_delay_alu instid0(VALU_DEP_3) | instskip(NEXT) | instid1(VALU_DEP_3)
	v_lshlrev_b32_e32 v11, 3, v12
	v_and_b32_e32 v12, 0x7f8, v14
	s_clause 0x1
	global_load_b64 v[55:56], v11, s[0:1]
	global_load_b64 v[57:58], v12, s[0:1] offset:2048
	v_dual_add_f32 v11, v59, v13 :: v_dual_and_b32 v10, 0x7f8, v10
	v_dual_mul_f32 v12, v85, v88 :: v_dual_fmac_f32 v97, 0xbf167918, v91
	v_dual_fmac_f32 v95, 0x3e9e377a, v74 :: v_dual_mul_f32 v14, v82, v88
	s_delay_alu instid0(VALU_DEP_3) | instskip(NEXT) | instid1(VALU_DEP_3)
	v_fmac_f32_e32 v42, 0x3e9e377a, v11
	v_fma_f32 v15, v82, v89, -v12
	s_delay_alu instid0(VALU_DEP_4)
	v_fmac_f32_e32 v97, 0x3e9e377a, v11
	v_add_f32_e32 v11, v16, v21
	global_load_b64 v[59:60], v10, s[0:1] offset:4096
	v_add_f32_e32 v10, v49, v27
	v_mul_f32_e32 v12, v77, v62
	v_fmac_f32_e32 v14, v85, v89
	v_fma_f32 v94, -0.5, v11, v50
	s_delay_alu instid0(VALU_DEP_4) | instskip(SKIP_1) | instid1(VALU_DEP_2)
	v_dual_mul_f32 v11, v51, v61 :: v_dual_add_f32 v10, v10, v28
	v_and_b32_e32 v91, 15, v67
	v_fma_f32 v11, v76, v80, -v11
	s_delay_alu instid0(VALU_DEP_3) | instskip(NEXT) | instid1(VALU_DEP_1)
	v_add_f32_e32 v10, v10, v26
	v_dual_add_f32 v49, v10, v33 :: v_dual_mul_f32 v10, v75, v62
	v_sub_f32_e32 v33, v27, v33
	v_sub_f32_e32 v27, v22, v21
	s_delay_alu instid0(VALU_DEP_3) | instskip(SKIP_2) | instid1(VALU_DEP_1)
	v_fma_f32 v13, v77, v81, -v10
	s_wait_loadcnt 0x9
	v_dual_mul_f32 v10, v76, v61 :: v_dual_mul_f32 v61, v79, v20
	v_fmac_f32_e32 v10, v51, v80
	s_delay_alu instid0(VALU_DEP_2) | instskip(SKIP_4) | instid1(VALU_DEP_3)
	v_fma_f32 v80, v19, v83, -v61
	s_wait_loadcnt 0x8
	v_mul_f32_e32 v51, v96, v9
	v_add_f32_e32 v82, v50, v25
	v_mul_f32_e32 v9, v87, v9
	v_dual_fmac_f32 v51, v8, v87 :: v_dual_fmac_f32 v12, v75, v81
	s_delay_alu instid0(VALU_DEP_2) | instskip(NEXT) | instid1(VALU_DEP_2)
	v_fma_f32 v81, v8, v96, -v9
	v_mul_f32_e32 v9, v44, v51
	v_mul_f32_e32 v8, v52, v51
	v_or_b32_e32 v51, 48, v84
	s_delay_alu instid0(VALU_DEP_3) | instskip(NEXT) | instid1(VALU_DEP_2)
	v_fma_f32 v9, v52, v81, -v9
	v_mul_lo_u32 v76, v45, v51
	s_wait_loadcnt 0x6
	v_mul_f32_e32 v62, v23, v30
	v_mul_f32_e32 v30, v24, v30
	s_delay_alu instid0(VALU_DEP_1) | instskip(NEXT) | instid1(VALU_DEP_3)
	v_fma_f32 v23, v23, v29, -v30
	v_fmac_f32_e32 v62, v24, v29
	v_or_b32_e32 v30, 32, v84
	s_wait_loadcnt 0x3
	v_mul_f32_e32 v29, v18, v54
	v_lshrrev_b32_e32 v52, 5, v76
	v_mul_f32_e32 v24, v62, v32
	v_mul_lo_u32 v30, v45, v30
	v_mul_f32_e32 v20, v83, v20
	s_delay_alu instid0(VALU_DEP_3) | instskip(SKIP_2) | instid1(VALU_DEP_1)
	v_fma_f32 v83, v31, v23, -v24
	s_wait_loadcnt 0x1
	v_dual_mul_f32 v23, v23, v32 :: v_dual_mul_f32 v32, v56, v58
	v_fmac_f32_e32 v23, v31, v62
	v_and_b32_e32 v31, 0xff, v30
	v_mul_f32_e32 v24, v17, v54
	v_fma_f32 v17, v17, v53, -v29
	v_or_b32_e32 v29, 64, v84
	v_fma_f32 v85, v55, v57, -v32
	v_lshlrev_b32_e32 v31, 3, v31
	v_lshrrev_b32_e32 v32, 5, v30
	v_lshrrev_b32_e32 v30, 13, v30
	v_fmac_f32_e32 v20, v19, v79
	v_lshrrev_b32_e32 v19, 13, v86
	v_mul_lo_u32 v79, v45, v29
	s_wait_loadcnt 0x0
	v_dual_mul_f32 v84, v55, v58 :: v_dual_mul_f32 v87, v17, v60
	v_and_b32_e32 v29, 0xff, v76
	v_and_b32_e32 v19, 0x7f8, v19
	;; [unrolled: 1-line block ×4, first 2 shown]
	v_mul_lo_u32 v86, v45, v91
	v_and_b32_e32 v54, 0xff, v79
	v_fmac_f32_e32 v24, v18, v53
	global_load_b64 v[18:19], v19, s[0:1] offset:4096
	v_fmac_f32_e32 v84, v56, v57
	v_lshlrev_b32_e32 v53, 3, v29
	s_clause 0x1
	global_load_b64 v[29:30], v31, s[0:1]
	global_load_b64 v[31:32], v32, s[0:1] offset:2048
	v_lshlrev_b32_e32 v57, 3, v54
	v_fmac_f32_e32 v87, v59, v24
	v_mul_f32_e32 v74, v24, v60
	v_lshrrev_b32_e32 v55, 5, v79
	v_and_b32_e32 v56, 0x7f8, v52
	v_and_b32_e32 v24, 0xff, v86
	v_add_f32_e32 v60, v25, v22
	v_fma_f32 v17, v59, v17, -v74
	v_and_b32_e32 v61, 0x7f8, v55
	s_clause 0x4
	global_load_b64 v[51:52], v51, s[0:1] offset:4096
	global_load_b64 v[53:54], v53, s[0:1]
	global_load_b64 v[55:56], v56, s[0:1] offset:2048
	global_load_b64 v[57:58], v57, s[0:1]
	global_load_b64 v[61:62], v61, s[0:1] offset:2048
	v_lshrrev_b32_e32 v59, 5, v86
	v_lshlrev_b32_e32 v24, 3, v24
	v_fmac_f32_e32 v50, -0.5, v60
	v_sub_f32_e32 v28, v28, v26
	v_sub_f32_e32 v26, v25, v16
	v_and_b32_e32 v74, 0x7f8, v59
	s_clause 0x1
	global_load_b64 v[59:60], v24, s[0:1]
	global_load_b64 v[74:75], v74, s[0:1] offset:2048
	v_dual_add_f32 v96, v26, v27 :: v_dual_mul_f32 v27, v93, v20
	v_mul_f32_e32 v26, v78, v20
	v_lshrrev_b32_e32 v20, 13, v76
	v_add_f32_e32 v24, v82, v16
	v_sub_f32_e32 v16, v16, v25
	v_fma_f32 v27, v78, v80, -v27
	s_delay_alu instid0(VALU_DEP_4) | instskip(SKIP_3) | instid1(VALU_DEP_2)
	v_and_b32_e32 v20, 0x7f8, v20
	global_load_b64 v[76:77], v20, s[0:1] offset:4096
	v_dual_add_f32 v20, v24, v21 :: v_dual_sub_f32 v21, v21, v22
	v_lshrrev_b32_e32 v24, 13, v79
	v_add_f32_e32 v20, v20, v22
	s_delay_alu instid0(VALU_DEP_3) | instskip(NEXT) | instid1(VALU_DEP_3)
	v_add_f32_e32 v98, v16, v21
	v_dual_mul_f32 v21, v92, v23 :: v_dual_and_b32 v24, 0x7f8, v24
	s_delay_alu instid0(VALU_DEP_3)
	v_mul_f32_e32 v16, v20, v87
	global_load_b64 v[78:79], v24, s[0:1] offset:4096
	v_mul_f32_e32 v24, v90, v23
	v_mul_f32_e32 v23, v49, v87
	v_fma_f32 v25, v90, v83, -v21
	v_fmac_f32_e32 v16, v49, v17
	s_delay_alu instid0(VALU_DEP_4) | instskip(NEXT) | instid1(VALU_DEP_4)
	v_fmac_f32_e32 v24, v92, v83
	v_fma_f32 v17, v20, v17, -v23
	s_wait_loadcnt 0xb
	v_mul_f32_e32 v21, v84, v19
	v_mul_f32_e32 v19, v85, v19
	s_wait_loadcnt 0x9
	v_dual_fmamk_f32 v99, v28, 0xbf737871, v50 :: v_dual_mul_f32 v20, v30, v32
	v_mul_f32_e32 v23, v29, v32
	v_fma_f32 v32, v18, v85, -v21
	v_fmac_f32_e32 v19, v18, v84
	v_or_b32_e32 v18, 16, v91
	v_fma_f32 v20, v29, v31, -v20
	v_fmac_f32_e32 v23, v30, v31
	v_lshrrev_b32_e32 v30, 13, v86
	v_fmac_f32_e32 v50, 0x3f737871, v28
	v_mul_lo_u32 v18, v45, v18
	s_wait_loadcnt 0x4
	v_dual_mul_f32 v29, v58, v62 :: v_dual_fmac_f32 v8, v44, v81
	v_dual_fmac_f32 v26, v93, v80 :: v_dual_fmac_f32 v99, 0x3f167918, v33
	v_mul_f32_e32 v21, v54, v56
	s_delay_alu instid0(VALU_DEP_3)
	v_fma_f32 v44, v57, v61, -v29
	v_and_b32_e32 v29, 0x7f8, v30
	v_and_b32_e32 v30, 0xff, v18
	v_lshrrev_b32_e32 v49, 5, v18
	v_fmamk_f32 v22, v33, 0x3f737871, v94
	v_fmac_f32_e32 v94, 0xbf737871, v33
	global_load_b64 v[80:81], v29, s[0:1] offset:4096
	v_dual_fmac_f32 v50, 0xbf167918, v33 :: v_dual_lshlrev_b32 v29, 3, v30
	v_dual_mul_f32 v33, v20, v52 :: v_dual_and_b32 v30, 0x7f8, v49
	s_wait_loadcnt 0x3
	v_dual_fmac_f32 v22, 0x3f167918, v28 :: v_dual_mul_f32 v93, v59, v75
	v_fma_f32 v21, v53, v55, -v21
	s_clause 0x1
	global_load_b64 v[82:83], v29, s[0:1]
	global_load_b64 v[84:85], v30, s[0:1] offset:2048
	v_dual_mul_f32 v29, v60, v75 :: v_dual_fmac_f32 v94, 0xbf167918, v28
	v_dual_fmac_f32 v33, v51, v23 :: v_dual_mul_f32 v28, v53, v56
	v_fmac_f32_e32 v99, 0x3e9e377a, v98
	v_or_b32_e32 v53, 32, v91
	v_lshrrev_b32_e32 v18, 13, v18
	v_mul_f32_e32 v92, v57, v62
	v_fmac_f32_e32 v28, v54, v55
	v_fma_f32 v100, v59, v74, -v29
	v_mul_lo_u32 v49, v45, v53
	v_or_b32_e32 v53, 48, v91
	v_dual_add_f32 v55, v47, v36 :: v_dual_and_b32 v18, 0x7f8, v18
	v_dual_fmac_f32 v92, v58, v61 :: v_dual_mul_f32 v31, v23, v52
	s_delay_alu instid0(VALU_DEP_3)
	v_mul_lo_u32 v30, v45, v53
	global_load_b64 v[57:58], v18, s[0:1] offset:4096
	v_and_b32_e32 v29, 0xff, v49
	v_lshrrev_b32_e32 v53, 5, v49
	v_fmac_f32_e32 v93, v60, v74
	v_lshrrev_b32_e32 v49, 13, v49
	s_delay_alu instid0(VALU_DEP_4)
	v_dual_fmac_f32 v22, 0x3e9e377a, v96 :: v_dual_lshlrev_b32 v29, 3, v29
	v_and_b32_e32 v18, 0xff, v30
	v_lshrrev_b32_e32 v54, 5, v30
	v_and_b32_e32 v53, 0x7f8, v53
	s_clause 0x1
	global_load_b64 v[59:60], v29, s[0:1]
	global_load_b64 v[61:62], v53, s[0:1] offset:2048
	v_lshlrev_b32_e32 v18, 3, v18
	v_and_b32_e32 v54, 0x7f8, v54
	s_clause 0x1
	global_load_b64 v[74:75], v18, s[0:1]
	global_load_b64 v[86:87], v54, s[0:1] offset:2048
	v_lshrrev_b32_e32 v18, 13, v30
	v_and_b32_e32 v29, 0x7f8, v49
	v_fma_f32 v53, v51, v20, -v31
	v_or_b32_e32 v20, 64, v91
	s_delay_alu instid0(VALU_DEP_4)
	v_dual_mul_f32 v49, v97, v33 :: v_dual_and_b32 v18, 0x7f8, v18
	global_load_b64 v[88:89], v29, s[0:1] offset:4096
	s_wait_loadcnt 0xa
	v_dual_mul_f32 v23, v28, v77 :: v_dual_fmac_f32 v50, 0x3e9e377a, v98
	v_sub_f32_e32 v52, v34, v40
	global_load_b64 v[90:91], v18, s[0:1] offset:4096
	v_mul_lo_u32 v18, v45, v20
	v_mul_f32_e32 v20, v21, v77
	v_fma_f32 v54, v76, v21, -v23
	v_mul_f32_e32 v21, v95, v19
	v_dual_mul_f32 v30, v22, v19 :: v_dual_add_f32 v51, v36, v41
	s_delay_alu instid0(VALU_DEP_4) | instskip(SKIP_1) | instid1(VALU_DEP_4)
	v_fmac_f32_e32 v20, v76, v28
	v_sub_f32_e32 v56, v36, v41
	v_fma_f32 v31, v22, v32, -v21
	s_delay_alu instid0(VALU_DEP_4) | instskip(NEXT) | instid1(VALU_DEP_4)
	v_fmac_f32_e32 v30, v95, v32
	v_dual_mul_f32 v32, v99, v33 :: v_dual_mul_f32 v21, v42, v20
	v_mul_f32_e32 v28, v50, v20
	v_fma_f32 v33, v99, v53, -v49
	v_and_b32_e32 v19, 0xff, v18
	v_lshrrev_b32_e32 v23, 5, v18
	v_fma_f32 v29, v50, v54, -v21
	v_fmac_f32_e32 v28, v42, v54
	v_add_f32_e32 v54, v55, v35
	v_sub_f32_e32 v42, v35, v36
	v_lshrrev_b32_e32 v18, 13, v18
	v_lshlrev_b32_e32 v19, 3, v19
	v_and_b32_e32 v22, 0x7f8, v23
	v_add_f32_e32 v54, v54, v38
	s_delay_alu instid0(VALU_DEP_1) | instskip(SKIP_2) | instid1(VALU_DEP_1)
	v_dual_fmac_f32 v94, 0x3e9e377a, v96 :: v_dual_add_f32 v77, v54, v41
	v_sub_f32_e32 v54, v35, v38
	v_add_f32_e32 v50, v35, v38
	v_fma_f32 v49, -0.5, v50, v47
	v_sub_f32_e32 v50, v36, v35
	v_fmac_f32_e32 v47, -0.5, v51
	v_sub_f32_e32 v51, v37, v39
	v_sub_f32_e32 v35, v34, v37
	v_fmac_f32_e32 v32, v97, v53
	v_dual_sub_f32 v53, v41, v38 :: v_dual_add_f32 v36, v34, v40
	s_delay_alu instid0(VALU_DEP_4) | instskip(NEXT) | instid1(VALU_DEP_2)
	v_fmamk_f32 v76, v51, 0x3f737871, v47
	v_dual_fmac_f32 v47, 0xbf737871, v51 :: v_dual_add_f32 v50, v50, v53
	s_delay_alu instid0(VALU_DEP_2) | instskip(NEXT) | instid1(VALU_DEP_1)
	v_dual_sub_f32 v53, v38, v41 :: v_dual_fmac_f32 v76, 0xbf167918, v52
	v_dual_fmac_f32 v47, 0x3f167918, v52 :: v_dual_add_f32 v42, v42, v53
	v_add_f32_e32 v53, v48, v34
	v_sub_f32_e32 v34, v37, v34
	s_delay_alu instid0(VALU_DEP_3) | instskip(NEXT) | instid1(VALU_DEP_3)
	v_fmac_f32_e32 v76, 0x3e9e377a, v42
	v_dual_fmac_f32 v47, 0x3e9e377a, v42 :: v_dual_add_f32 v42, v53, v37
	v_add_f32_e32 v53, v37, v39
	v_sub_f32_e32 v37, v39, v40
	s_delay_alu instid0(VALU_DEP_3) | instskip(NEXT) | instid1(VALU_DEP_3)
	v_dual_add_f32 v41, v42, v39 :: v_dual_and_b32 v18, 0x7f8, v18
	v_fma_f32 v53, -0.5, v53, v48
	v_fmac_f32_e32 v48, -0.5, v36
	s_delay_alu instid0(VALU_DEP_3)
	v_dual_sub_f32 v36, v40, v39 :: v_dual_add_f32 v39, v41, v40
	s_clause 0x2
	global_load_b64 v[20:21], v19, s[0:1]
	global_load_b64 v[22:23], v22, s[0:1] offset:2048
	global_load_b64 v[18:19], v18, s[0:1] offset:4096
	v_add_f32_e32 v34, v34, v37
	v_fmamk_f32 v41, v54, 0xbf737871, v48
	v_add_f32_e32 v55, v35, v36
	s_wait_loadcnt 0xd
	v_dual_mul_f32 v35, v92, v79 :: v_dual_fmac_f32 v48, 0x3f737871, v54
	s_delay_alu instid0(VALU_DEP_3) | instskip(SKIP_1) | instid1(VALU_DEP_3)
	v_dual_mul_f32 v36, v44, v79 :: v_dual_fmac_f32 v41, 0x3f167918, v56
	v_fmamk_f32 v40, v56, 0x3f737871, v53
	v_fma_f32 v35, v78, v44, -v35
	s_delay_alu instid0(VALU_DEP_4) | instskip(NEXT) | instid1(VALU_DEP_4)
	v_fmac_f32_e32 v48, 0xbf167918, v56
	v_dual_fmac_f32 v36, v78, v92 :: v_dual_fmac_f32 v41, 0x3e9e377a, v34
	s_delay_alu instid0(VALU_DEP_1) | instskip(SKIP_3) | instid1(VALU_DEP_2)
	v_dual_fmac_f32 v48, 0x3e9e377a, v34 :: v_dual_mul_f32 v79, v43, v36
	s_wait_loadcnt 0xc
	v_mul_f32_e32 v37, v100, v81
	v_mul_f32_e32 v34, v93, v81
	v_fmac_f32_e32 v37, v80, v93
	s_delay_alu instid0(VALU_DEP_2) | instskip(SKIP_4) | instid1(VALU_DEP_3)
	v_fma_f32 v80, v80, v100, -v34
	v_fmamk_f32 v38, v52, 0xbf737871, v49
	s_wait_loadcnt 0xa
	v_mul_f32_e32 v42, v83, v85
	v_mul_f32_e32 v44, v82, v85
	v_fmac_f32_e32 v38, 0xbf167918, v51
	s_delay_alu instid0(VALU_DEP_3) | instskip(NEXT) | instid1(VALU_DEP_3)
	v_fma_f32 v78, v82, v84, -v42
	v_fmac_f32_e32 v44, v83, v84
	v_mul_f32_e32 v42, v94, v36
	v_mul_f32_e32 v36, v39, v37
	s_delay_alu instid0(VALU_DEP_2)
	v_fmac_f32_e32 v42, v43, v35
	v_fma_f32 v43, v94, v35, -v79
	v_mul_f32_e32 v35, v77, v37
	s_wait_loadcnt 0x9
	v_dual_fmac_f32 v36, v77, v80 :: v_dual_mul_f32 v81, v78, v58
	v_mul_f32_e32 v34, v44, v58
	s_delay_alu instid0(VALU_DEP_3) | instskip(NEXT) | instid1(VALU_DEP_3)
	v_fma_f32 v37, v39, v80, -v35
	v_fmac_f32_e32 v81, v57, v44
	s_delay_alu instid0(VALU_DEP_3) | instskip(SKIP_4) | instid1(VALU_DEP_2)
	v_fma_f32 v44, v57, v78, -v34
	v_fmac_f32_e32 v38, 0x3e9e377a, v50
	s_wait_loadcnt 0x7
	v_mul_f32_e32 v57, v60, v62
	v_mul_f32_e32 v58, v59, v62
	v_fma_f32 v39, v59, v61, -v57
	s_wait_loadcnt 0x5
	v_mul_f32_e32 v35, v75, v87
	s_delay_alu instid0(VALU_DEP_3) | instskip(NEXT) | instid1(VALU_DEP_2)
	v_dual_mul_f32 v57, v74, v87 :: v_dual_fmac_f32 v58, v60, v61
	v_fma_f32 v59, v74, v86, -v35
	s_delay_alu instid0(VALU_DEP_2) | instskip(SKIP_4) | instid1(VALU_DEP_2)
	v_fmac_f32_e32 v57, v75, v86
	s_wait_loadcnt 0x4
	v_mul_f32_e32 v60, v39, v89
	v_mul_f32_e32 v35, v38, v81
	s_wait_loadcnt 0x3
	v_dual_mul_f32 v61, v59, v91 :: v_dual_fmac_f32 v60, v88, v58
	s_delay_alu instid0(VALU_DEP_1) | instskip(NEXT) | instid1(VALU_DEP_1)
	v_dual_fmac_f32 v61, v90, v57 :: v_dual_fmac_f32 v40, 0x3f167918, v54
	v_fmac_f32_e32 v40, 0x3e9e377a, v55
	s_delay_alu instid0(VALU_DEP_1) | instskip(SKIP_2) | instid1(VALU_DEP_3)
	v_mul_f32_e32 v34, v40, v81
	v_fma_f32 v35, v40, v44, -v35
	v_mul_f32_e32 v40, v57, v91
	v_fmac_f32_e32 v34, v38, v44
	v_mul_f32_e32 v38, v58, v89
	v_mul_f32_e32 v44, v76, v60
	s_delay_alu instid0(VALU_DEP_4) | instskip(SKIP_4) | instid1(VALU_DEP_4)
	v_fma_f32 v57, v90, v59, -v40
	v_mul_f32_e32 v40, v48, v61
	v_mul_f32_e32 v58, v47, v61
	v_fma_f32 v39, v88, v39, -v38
	v_mul_f32_e32 v38, v41, v60
	v_fmac_f32_e32 v40, v47, v57
	s_delay_alu instid0(VALU_DEP_2)
	v_fmac_f32_e32 v38, v76, v39
	v_fma_f32 v39, v41, v39, -v44
	v_fma_f32 v41, v48, v57, -v58
	s_wait_alu 0xfffe
	s_cbranch_vccnz .LBB0_20
; %bb.17:
	v_mad_co_u64_u32 v[47:48], null, s6, v64, 0
	v_mad_co_u64_u32 v[57:58], null, s4, v63, 0
	;; [unrolled: 1-line block ×4, first 2 shown]
	s_delay_alu instid0(VALU_DEP_4) | instskip(SKIP_1) | instid1(VALU_DEP_4)
	v_mov_b32_e32 v44, v48
	s_lshl_b64 s[0:1], s[10:11], 3
	v_mov_b32_e32 v48, v58
	s_add_nc_u64 s[0:1], s[8:9], s[0:1]
	s_delay_alu instid0(VALU_DEP_2) | instskip(SKIP_1) | instid1(VALU_DEP_3)
	v_mad_co_u64_u32 v[61:62], null, s7, v64, v[44:45]
	v_mov_b32_e32 v44, v60
	v_mad_co_u64_u32 v[76:77], null, s5, v63, v[48:49]
	v_mov_b32_e32 v60, v75
	;; [unrolled: 2-line block ×4, first 2 shown]
	s_delay_alu instid0(VALU_DEP_3) | instskip(NEXT) | instid1(VALU_DEP_2)
	v_lshlrev_b64_e32 v[47:48], 3, v[47:48]
	v_lshlrev_b64_e32 v[79:80], 3, v[57:58]
	s_delay_alu instid0(VALU_DEP_4) | instskip(SKIP_1) | instid1(VALU_DEP_4)
	v_mad_co_u64_u32 v[75:76], null, s5, v72, v[60:61]
	v_mov_b32_e32 v60, v61
	v_add_co_u32 v44, vcc_lo, s0, v47
	s_wait_alu 0xfffd
	v_add_co_ci_u32_e32 v57, vcc_lo, s1, v48, vcc_lo
	s_delay_alu instid0(VALU_DEP_3) | instskip(NEXT) | instid1(VALU_DEP_3)
	v_lshlrev_b64_e32 v[59:60], 3, v[59:60]
	v_add_co_u32 v47, vcc_lo, v44, v79
	s_wait_alu 0xfffd
	s_delay_alu instid0(VALU_DEP_3) | instskip(SKIP_1) | instid1(VALU_DEP_4)
	v_add_co_ci_u32_e32 v48, vcc_lo, v57, v80, vcc_lo
	v_mov_b32_e32 v58, v78
	v_add_co_u32 v59, vcc_lo, v44, v59
	v_lshlrev_b64_e32 v[61:62], 3, v[74:75]
	global_store_b64 v[47:48], v[2:3], off
	v_mad_co_u64_u32 v[47:48], null, s4, v73, 0
	v_mad_co_u64_u32 v[74:75], null, s5, v71, v[58:59]
	v_and_b32_e32 v58, 0x1c0, v69
	s_wait_alu 0xfffd
	v_add_co_ci_u32_e32 v60, vcc_lo, v57, v60, vcc_lo
	v_add_co_u32 v61, vcc_lo, v44, v61
	s_delay_alu instid0(VALU_DEP_3)
	v_add_nc_u32_e32 v79, v58, v66
	v_mov_b32_e32 v78, v74
	v_mad_co_u64_u32 v[74:75], null, s5, v73, v[48:49]
	s_wait_alu 0xfffd
	v_add_co_ci_u32_e32 v62, vcc_lo, v57, v62, vcc_lo
	v_mad_co_u64_u32 v[75:76], null, s4, v79, 0
	global_store_b64 v[59:60], v[0:1], off
	v_lshlrev_b64_e32 v[58:59], 3, v[77:78]
	global_store_b64 v[61:62], v[4:5], off
	v_mov_b32_e32 v48, v74
	v_add_nc_u32_e32 v74, 16, v79
	v_add_nc_u32_e32 v80, 32, v79
	v_mov_b32_e32 v60, v76
	v_add_co_u32 v58, vcc_lo, v44, v58
	v_lshlrev_b64_e32 v[47:48], 3, v[47:48]
	s_wait_alu 0xfffd
	v_add_co_ci_u32_e32 v59, vcc_lo, v57, v59, vcc_lo
	v_mad_co_u64_u32 v[60:61], null, s5, v79, v[60:61]
	v_mad_co_u64_u32 v[61:62], null, s4, v74, 0
	s_delay_alu instid0(VALU_DEP_4)
	v_add_co_u32 v47, vcc_lo, v44, v47
	global_store_b64 v[58:59], v[6:7], off
	s_wait_alu 0xfffd
	v_add_co_ci_u32_e32 v48, vcc_lo, v57, v48, vcc_lo
	v_mov_b32_e32 v76, v60
	v_mov_b32_e32 v58, v62
	v_mad_co_u64_u32 v[77:78], null, s4, v80, 0
	global_store_b64 v[47:48], v[14:15], off
	v_lshlrev_b64_e32 v[59:60], 3, v[75:76]
	v_add_nc_u32_e32 v76, 48, v79
	s_mov_b32 s0, 0
	s_delay_alu instid0(VALU_DEP_2) | instskip(SKIP_4) | instid1(VALU_DEP_3)
	v_mad_co_u64_u32 v[47:48], null, s5, v74, v[58:59]
	v_mov_b32_e32 v48, v78
	v_add_co_u32 v58, vcc_lo, v44, v59
	s_wait_alu 0xfffd
	v_add_co_ci_u32_e32 v59, vcc_lo, v57, v60, vcc_lo
	v_mad_co_u64_u32 v[74:75], null, s5, v80, v[48:49]
	v_mov_b32_e32 v62, v47
	global_store_b64 v[58:59], v[12:13], off
	v_mad_co_u64_u32 v[58:59], null, s4, v76, 0
	v_lshlrev_b64_e32 v[47:48], 3, v[61:62]
	v_add_nc_u32_e32 v62, 64, v79
	v_dual_mov_b32 v78, v74 :: v_dual_and_b32 v79, 0x1c0, v68
	s_delay_alu instid0(VALU_DEP_2) | instskip(NEXT) | instid1(VALU_DEP_2)
	v_mad_co_u64_u32 v[60:61], null, s4, v62, 0
	v_lshlrev_b64_e32 v[74:75], 3, v[77:78]
	s_delay_alu instid0(VALU_DEP_3)
	v_add_nc_u32_e32 v79, v79, v65
	v_add_co_u32 v47, vcc_lo, v44, v47
	s_wait_alu 0xfffd
	v_add_co_ci_u32_e32 v48, vcc_lo, v57, v48, vcc_lo
	v_mad_co_u64_u32 v[76:77], null, s5, v76, v[59:60]
	v_mad_co_u64_u32 v[61:62], null, s5, v62, v[61:62]
	v_mad_co_u64_u32 v[77:78], null, s4, v79, 0
	v_add_co_u32 v74, vcc_lo, v44, v74
	s_delay_alu instid0(VALU_DEP_4)
	v_mov_b32_e32 v59, v76
	global_store_b64 v[47:48], v[10:11], off
	v_lshlrev_b64_e32 v[60:61], 3, v[60:61]
	s_wait_alu 0xfffd
	v_add_co_ci_u32_e32 v75, vcc_lo, v57, v75, vcc_lo
	v_lshlrev_b64_e32 v[58:59], 3, v[58:59]
	v_dual_mov_b32 v47, v78 :: v_dual_add_nc_u32 v62, 16, v79
	v_add_nc_u32_e32 v80, 32, v79
	global_store_b64 v[74:75], v[26:27], off
	v_add_nc_u32_e32 v81, 48, v79
	v_add_co_u32 v58, vcc_lo, v44, v58
	v_mad_co_u64_u32 v[47:48], null, s5, v79, v[47:48]
	s_wait_alu 0xfffd
	v_add_co_ci_u32_e32 v59, vcc_lo, v57, v59, vcc_lo
	v_add_co_u32 v60, vcc_lo, v44, v60
	s_wait_alu 0xfffd
	v_add_co_ci_u32_e32 v61, vcc_lo, v57, v61, vcc_lo
	s_delay_alu instid0(VALU_DEP_4)
	v_mov_b32_e32 v78, v47
	v_mad_co_u64_u32 v[47:48], null, s4, v62, 0
	s_clause 0x1
	global_store_b64 v[58:59], v[8:9], off
	global_store_b64 v[60:61], v[24:25], off
	v_mad_co_u64_u32 v[60:61], null, s4, v80, 0
	v_lshlrev_b64_e32 v[58:59], 3, v[77:78]
	v_add_nc_u32_e32 v82, 64, v79
	v_mad_co_u64_u32 v[74:75], null, s5, v62, v[48:49]
	v_mad_co_u64_u32 v[75:76], null, s4, v81, 0
	v_mov_b32_e32 v48, v61
	s_delay_alu instid0(VALU_DEP_4) | instskip(SKIP_1) | instid1(VALU_DEP_3)
	v_mad_co_u64_u32 v[77:78], null, s4, v82, 0
	v_add_co_u32 v58, vcc_lo, v44, v58
	v_mad_co_u64_u32 v[61:62], null, s5, v80, v[48:49]
	s_wait_alu 0xfffd
	v_add_co_ci_u32_e32 v59, vcc_lo, v57, v59, vcc_lo
	v_mov_b32_e32 v48, v74
	global_store_b64 v[58:59], v[16:17], off
	v_dual_mov_b32 v59, v78 :: v_dual_mov_b32 v58, v76
	v_lshlrev_b64_e32 v[60:61], 3, v[60:61]
	v_lshlrev_b64_e32 v[47:48], 3, v[47:48]
	s_delay_alu instid0(VALU_DEP_3) | instskip(NEXT) | instid1(VALU_DEP_3)
	v_mad_co_u64_u32 v[78:79], null, s5, v81, v[58:59]
	v_mad_co_u64_u32 v[58:59], null, s5, v82, v[59:60]
	s_delay_alu instid0(VALU_DEP_3) | instskip(SKIP_1) | instid1(VALU_DEP_4)
	v_add_co_u32 v47, vcc_lo, v44, v47
	s_wait_alu 0xfffd
	v_add_co_ci_u32_e32 v48, vcc_lo, v57, v48, vcc_lo
	s_delay_alu instid0(VALU_DEP_4)
	v_mov_b32_e32 v76, v78
	v_add_co_u32 v59, vcc_lo, v44, v60
	s_wait_alu 0xfffd
	v_add_co_ci_u32_e32 v60, vcc_lo, v57, v61, vcc_lo
	v_mov_b32_e32 v78, v58
	global_store_b64 v[47:48], v[30:31], off
	v_lshlrev_b64_e32 v[47:48], 3, v[75:76]
	global_store_b64 v[59:60], v[32:33], off
	v_lshlrev_b64_e32 v[58:59], 3, v[77:78]
	v_add_co_u32 v47, vcc_lo, v44, v47
	s_wait_alu 0xfffd
	v_add_co_ci_u32_e32 v48, vcc_lo, v57, v48, vcc_lo
	s_delay_alu instid0(VALU_DEP_3)
	v_add_co_u32 v58, vcc_lo, v44, v58
	s_wait_alu 0xfffd
	v_add_co_ci_u32_e32 v59, vcc_lo, v57, v59, vcc_lo
	s_clause 0x1
	global_store_b64 v[47:48], v[28:29], off
	; meta instruction
	global_store_b64 v[58:59], v[42:43], off
	s_and_saveexec_b32 s1, s2
	s_cbranch_execz .LBB0_19
; %bb.18:
	v_add_nc_u32_e32 v77, 47, v63
	v_mad_co_u64_u32 v[47:48], null, s4, v67, 0
	s_mov_b32 s16, exec_lo
	s_delay_alu instid0(VALU_DEP_2) | instskip(SKIP_1) | instid1(VALU_DEP_3)
	v_mad_co_u64_u32 v[60:61], null, s4, v77, 0
	v_add_nc_u32_e32 v62, 31, v63
	v_mad_co_u64_u32 v[74:75], null, s5, v67, v[48:49]
	v_add_nc_u32_e32 v67, 0x4f, v63
	s_delay_alu instid0(VALU_DEP_3) | instskip(NEXT) | instid1(VALU_DEP_1)
	v_mad_co_u64_u32 v[58:59], null, s4, v62, 0
	v_dual_mov_b32 v48, v59 :: v_dual_mov_b32 v59, v61
	s_delay_alu instid0(VALU_DEP_1) | instskip(SKIP_2) | instid1(VALU_DEP_4)
	v_mad_co_u64_u32 v[61:62], null, s5, v62, v[48:49]
	v_add_nc_u32_e32 v80, 63, v63
	v_mov_b32_e32 v48, v74
	v_mad_co_u64_u32 v[77:78], null, s5, v77, v[59:60]
	v_mad_co_u64_u32 v[78:79], null, s4, v67, 0
	v_mov_b32_e32 v59, v61
	v_mad_co_u64_u32 v[75:76], null, s4, v80, 0
	v_lshlrev_b64_e32 v[47:48], 3, v[47:48]
	v_mov_b32_e32 v61, v77
	s_delay_alu instid0(VALU_DEP_4) | instskip(NEXT) | instid1(VALU_DEP_4)
	v_lshlrev_b64_e32 v[58:59], 3, v[58:59]
	v_mov_b32_e32 v62, v76
	s_delay_alu instid0(VALU_DEP_3) | instskip(NEXT) | instid1(VALU_DEP_2)
	v_lshlrev_b64_e32 v[60:61], 3, v[60:61]
	v_mad_co_u64_u32 v[76:77], null, s5, v80, v[62:63]
	v_add_co_u32 v80, vcc_lo, v44, v47
	v_mov_b32_e32 v47, v79
	s_wait_alu 0xfffd
	v_add_co_ci_u32_e32 v81, vcc_lo, v57, v48, vcc_lo
                                        ; kill: def $vgpr48 killed $sgpr0 killed $exec
	v_add_co_u32 v58, vcc_lo, v44, v58
	s_delay_alu instid0(VALU_DEP_3)
	v_mad_co_u64_u32 v[47:48], null, s5, v67, v[47:48]
	v_lshlrev_b64_e32 v[74:75], 3, v[75:76]
	s_wait_alu 0xfffd
	v_add_co_ci_u32_e32 v59, vcc_lo, v57, v59, vcc_lo
	v_add_co_u32 v60, vcc_lo, v44, v60
	s_wait_alu 0xfffd
	v_add_co_ci_u32_e32 v61, vcc_lo, v57, v61, vcc_lo
	v_mov_b32_e32 v79, v47
	v_add_co_u32 v74, vcc_lo, v44, v74
	s_wait_alu 0xfffd
	v_add_co_ci_u32_e32 v75, vcc_lo, v57, v75, vcc_lo
	s_delay_alu instid0(VALU_DEP_3)
	v_lshlrev_b64_e32 v[47:48], 3, v[78:79]
	s_clause 0x3
	global_store_b64 v[80:81], v[36:37], off
	global_store_b64 v[58:59], v[34:35], off
	;; [unrolled: 1-line block ×4, first 2 shown]
	v_add_co_u32 v47, vcc_lo, v44, v47
	s_wait_alu 0xfffd
	v_add_co_ci_u32_e32 v48, vcc_lo, v57, v48, vcc_lo
.LBB0_19:
	s_wait_alu 0xfffe
	s_or_b32 exec_lo, exec_lo, s1
	s_delay_alu instid0(SALU_CYCLE_1)
	s_and_b32 vcc_lo, exec_lo, s0
	s_wait_alu 0xfffe
	s_cbranch_vccnz .LBB0_21
	s_branch .LBB0_26
.LBB0_20:
                                        ; implicit-def: $vgpr47_vgpr48
	s_cbranch_execz .LBB0_26
.LBB0_21:
	s_mov_b32 s0, exec_lo
                                        ; implicit-def: $vgpr47_vgpr48
	v_cmpx_gt_u64_e64 s[12:13], v[45:46]
	s_cbranch_execz .LBB0_25
; %bb.22:
	v_mad_co_u64_u32 v[44:45], null, s6, v64, 0
	v_mad_co_u64_u32 v[46:47], null, s4, v63, 0
	v_mad_co_u64_u32 v[57:58], null, s4, v70, 0
	s_mov_b32 s3, s16
	s_delay_alu instid0(VALU_DEP_2) | instskip(SKIP_1) | instid1(VALU_DEP_3)
	v_mad_co_u64_u32 v[59:60], null, s7, v64, v[45:46]
	v_mad_co_u64_u32 v[60:61], null, s4, v72, 0
	v_mov_b32_e32 v45, v58
	v_mad_co_u64_u32 v[47:48], null, s5, v63, v[47:48]
	s_lshl_b64 s[6:7], s[10:11], 3
	s_wait_alu 0xfffe
	s_add_nc_u64 s[6:7], s[8:9], s[6:7]
	s_delay_alu instid0(VALU_DEP_3) | instskip(SKIP_2) | instid1(VALU_DEP_4)
	v_mov_b32_e32 v48, v61
	v_mad_co_u64_u32 v[62:63], null, s5, v70, v[45:46]
	v_mov_b32_e32 v45, v59
	v_lshlrev_b64_e32 v[46:47], 3, v[46:47]
	s_delay_alu instid0(VALU_DEP_3) | instskip(NEXT) | instid1(VALU_DEP_3)
	v_mov_b32_e32 v58, v62
	v_lshlrev_b64_e32 v[44:45], 3, v[44:45]
	v_mad_co_u64_u32 v[61:62], null, s5, v72, v[48:49]
	v_mad_co_u64_u32 v[62:63], null, s4, v71, 0
	s_delay_alu instid0(VALU_DEP_4) | instskip(SKIP_1) | instid1(VALU_DEP_4)
	v_lshlrev_b64_e32 v[57:58], 3, v[57:58]
	s_wait_alu 0xfffe
	v_add_co_u32 v44, vcc_lo, s6, v44
	s_wait_alu 0xfffd
	v_add_co_ci_u32_e32 v45, vcc_lo, s7, v45, vcc_lo
	s_delay_alu instid0(VALU_DEP_2) | instskip(SKIP_1) | instid1(VALU_DEP_2)
	v_add_co_u32 v46, vcc_lo, v44, v46
	s_wait_alu 0xfffd
	v_add_co_ci_u32_e32 v47, vcc_lo, v45, v47, vcc_lo
	v_mov_b32_e32 v48, v63
	global_store_b64 v[46:47], v[2:3], off
	v_add_co_u32 v2, vcc_lo, v44, v57
	v_and_b32_e32 v57, 0x1c0, v69
	s_wait_alu 0xfffd
	v_add_co_ci_u32_e32 v3, vcc_lo, v45, v58, vcc_lo
	v_mad_co_u64_u32 v[46:47], null, s4, v73, 0
	global_store_b64 v[2:3], v[0:1], off
	v_lshlrev_b64_e32 v[0:1], 3, v[60:61]
	v_mad_co_u64_u32 v[2:3], null, s5, v71, v[48:49]
	v_dual_mov_b32 v3, v47 :: v_dual_add_nc_u32 v60, v57, v66
	s_delay_alu instid0(VALU_DEP_3) | instskip(SKIP_1) | instid1(VALU_DEP_4)
	v_add_co_u32 v0, vcc_lo, v44, v0
	s_wait_alu 0xfffd
	v_add_co_ci_u32_e32 v1, vcc_lo, v45, v1, vcc_lo
	s_delay_alu instid0(VALU_DEP_3)
	v_mad_co_u64_u32 v[47:48], null, s5, v73, v[3:4]
	v_dual_mov_b32 v63, v2 :: v_dual_add_nc_u32 v48, 16, v60
	v_mad_co_u64_u32 v[57:58], null, s4, v60, 0
	global_store_b64 v[0:1], v[4:5], off
	v_lshlrev_b64_e32 v[0:1], 3, v[62:63]
	v_mad_co_u64_u32 v[3:4], null, s4, v48, 0
	v_lshlrev_b64_e32 v[46:47], 3, v[46:47]
	v_mov_b32_e32 v2, v58
	s_delay_alu instid0(VALU_DEP_4) | instskip(SKIP_2) | instid1(VALU_DEP_3)
	v_add_co_u32 v0, vcc_lo, v44, v0
	s_wait_alu 0xfffd
	v_add_co_ci_u32_e32 v1, vcc_lo, v45, v1, vcc_lo
	v_mad_co_u64_u32 v[58:59], null, s5, v60, v[2:3]
	v_dual_mov_b32 v2, v4 :: v_dual_add_nc_u32 v59, 32, v60
	v_add_co_u32 v4, vcc_lo, v44, v46
	s_wait_alu 0xfffd
	v_add_co_ci_u32_e32 v5, vcc_lo, v45, v47, vcc_lo
	s_clause 0x1
	global_store_b64 v[0:1], v[6:7], off
	global_store_b64 v[4:5], v[14:15], off
	v_add_nc_u32_e32 v7, 48, v60
	v_mad_co_u64_u32 v[46:47], null, s5, v48, v[2:3]
	v_mad_co_u64_u32 v[47:48], null, s4, v59, 0
	v_lshlrev_b64_e32 v[0:1], 3, v[57:58]
	s_delay_alu instid0(VALU_DEP_4) | instskip(NEXT) | instid1(VALU_DEP_4)
	v_mad_co_u64_u32 v[5:6], null, s4, v7, 0
	v_mov_b32_e32 v4, v46
	v_add_nc_u32_e32 v46, 64, v60
	v_mov_b32_e32 v2, v48
	v_add_co_u32 v0, vcc_lo, v44, v0
	s_delay_alu instid0(VALU_DEP_4) | instskip(SKIP_2) | instid1(VALU_DEP_2)
	v_lshlrev_b64_e32 v[3:4], 3, v[3:4]
	s_wait_alu 0xfffd
	v_add_co_ci_u32_e32 v1, vcc_lo, v45, v1, vcc_lo
	v_mad_co_u64_u32 v[14:15], null, s5, v59, v[2:3]
	v_mov_b32_e32 v2, v6
	v_add_co_u32 v3, vcc_lo, v44, v3
	s_wait_alu 0xfffd
	v_add_co_ci_u32_e32 v4, vcc_lo, v45, v4, vcc_lo
	s_clause 0x1
	global_store_b64 v[0:1], v[12:13], off
	global_store_b64 v[3:4], v[10:11], off
	v_mad_co_u64_u32 v[6:7], null, s5, v7, v[2:3]
	v_mov_b32_e32 v48, v14
	v_mad_co_u64_u32 v[14:15], null, s4, v46, 0
	v_and_b32_e32 v3, 0x1c0, v68
	s_delay_alu instid0(VALU_DEP_3) | instskip(NEXT) | instid1(VALU_DEP_2)
	v_lshlrev_b64_e32 v[0:1], 3, v[47:48]
                                        ; implicit-def: $vgpr47_vgpr48
	v_add_nc_u32_e32 v12, v3, v65
	v_lshlrev_b64_e32 v[3:4], 3, v[5:6]
	v_mov_b32_e32 v2, v15
	s_delay_alu instid0(VALU_DEP_4) | instskip(NEXT) | instid1(VALU_DEP_4)
	v_add_co_u32 v0, vcc_lo, v44, v0
	v_add_nc_u32_e32 v13, 16, v12
	s_wait_alu 0xfffd
	v_add_co_ci_u32_e32 v1, vcc_lo, v45, v1, vcc_lo
	v_mad_co_u64_u32 v[5:6], null, s5, v46, v[2:3]
	v_mad_co_u64_u32 v[6:7], null, s4, v12, 0
	v_add_co_u32 v2, vcc_lo, v44, v3
	s_wait_alu 0xfffd
	v_add_co_ci_u32_e32 v3, vcc_lo, v45, v4, vcc_lo
	s_delay_alu instid0(VALU_DEP_4)
	v_mov_b32_e32 v15, v5
	v_mad_co_u64_u32 v[4:5], null, s4, v13, 0
	global_store_b64 v[0:1], v[26:27], off
	v_mov_b32_e32 v0, v7
	v_lshlrev_b64_e32 v[10:11], 3, v[14:15]
                                        ; kill: def $vgpr1 killed $sgpr0 killed $exec
	global_store_b64 v[2:3], v[8:9], off
	v_mad_co_u64_u32 v[0:1], null, s5, v12, v[0:1]
	v_mov_b32_e32 v1, v5
	v_add_co_u32 v2, vcc_lo, v44, v10
	s_wait_alu 0xfffd
	v_add_co_ci_u32_e32 v3, vcc_lo, v45, v11, vcc_lo
	s_delay_alu instid0(VALU_DEP_2)
	v_mad_co_u64_u32 v[8:9], null, s5, v13, v[1:2]
	v_mov_b32_e32 v7, v0
	global_store_b64 v[2:3], v[24:25], off
	v_lshlrev_b64_e32 v[2:3], 3, v[6:7]
	v_dual_mov_b32 v5, v8 :: v_dual_add_nc_u32 v10, 32, v12
	v_add_nc_u32_e32 v13, 48, v12
	s_delay_alu instid0(VALU_DEP_3) | instskip(NEXT) | instid1(VALU_DEP_3)
	v_add_co_u32 v2, vcc_lo, v44, v2
	v_mad_co_u64_u32 v[0:1], null, s4, v10, 0
	s_delay_alu instid0(VALU_DEP_3) | instskip(SKIP_3) | instid1(VALU_DEP_4)
	v_mad_co_u64_u32 v[6:7], null, s4, v13, 0
	v_lshlrev_b64_e32 v[4:5], 3, v[4:5]
	s_wait_alu 0xfffd
	v_add_co_ci_u32_e32 v3, vcc_lo, v45, v3, vcc_lo
	v_mad_co_u64_u32 v[10:11], null, s5, v10, v[1:2]
	v_add_nc_u32_e32 v14, 64, v12
	s_delay_alu instid0(VALU_DEP_4)
	v_add_co_u32 v4, vcc_lo, v44, v4
	s_wait_alu 0xfffd
	v_add_co_ci_u32_e32 v5, vcc_lo, v45, v5, vcc_lo
	global_store_b64 v[2:3], v[16:17], off
	v_mov_b32_e32 v1, v10
	v_mad_co_u64_u32 v[8:9], null, s4, v14, 0
	global_store_b64 v[4:5], v[30:31], off
	v_lshlrev_b64_e32 v[0:1], 3, v[0:1]
	v_mad_co_u64_u32 v[11:12], null, s5, v13, v[7:8]
	v_mov_b32_e32 v7, v9
	s_delay_alu instid0(VALU_DEP_3) | instskip(SKIP_1) | instid1(VALU_DEP_4)
	v_add_co_u32 v0, vcc_lo, v44, v0
	s_wait_alu 0xfffd
	v_add_co_ci_u32_e32 v1, vcc_lo, v45, v1, vcc_lo
	s_delay_alu instid0(VALU_DEP_3) | instskip(SKIP_1) | instid1(VALU_DEP_1)
	v_mad_co_u64_u32 v[9:10], null, s5, v14, v[7:8]
	v_mov_b32_e32 v7, v11
	v_lshlrev_b64_e32 v[2:3], 3, v[6:7]
	s_delay_alu instid0(VALU_DEP_3) | instskip(NEXT) | instid1(VALU_DEP_2)
	v_lshlrev_b64_e32 v[4:5], 3, v[8:9]
	v_add_co_u32 v2, vcc_lo, v44, v2
	s_wait_alu 0xfffd
	s_delay_alu instid0(VALU_DEP_3) | instskip(NEXT) | instid1(VALU_DEP_3)
	v_add_co_ci_u32_e32 v3, vcc_lo, v45, v3, vcc_lo
	v_add_co_u32 v4, vcc_lo, v44, v4
	s_wait_alu 0xfffd
	v_add_co_ci_u32_e32 v5, vcc_lo, v45, v5, vcc_lo
	s_clause 0x2
	global_store_b64 v[0:1], v[32:33], off
	global_store_b64 v[2:3], v[28:29], off
	;; [unrolled: 1-line block ×3, first 2 shown]
	s_and_saveexec_b32 s1, s2
	s_cbranch_execz .LBB0_24
; %bb.23:
	v_mad_co_u64_u32 v[0:1], null, 0x78, s4, v[44:45]
	v_mad_co_u64_u32 v[2:3], null, 0xf8, s4, v[44:45]
	;; [unrolled: 1-line block ×5, first 2 shown]
	s_delay_alu instid0(VALU_DEP_4)
	v_mad_co_u64_u32 v[8:9], null, 0x78, s5, v[1:2]
	v_mov_b32_e32 v1, v3
	v_mov_b32_e32 v3, v5
	;; [unrolled: 1-line block ×3, first 2 shown]
	s_or_b32 s3, s16, exec_lo
	v_mov_b32_e32 v7, v48
	v_mad_co_u64_u32 v[9:10], null, 0xf8, s5, v[1:2]
	v_mov_b32_e32 v1, v8
	v_mad_co_u64_u32 v[10:11], null, 0x178, s5, v[3:4]
	v_mad_co_u64_u32 v[11:12], null, 0x1f8, s5, v[5:6]
	global_store_b64 v[0:1], v[36:37], off
	v_mad_co_u64_u32 v[0:1], null, 0x278, s5, v[7:8]
	v_mov_b32_e32 v3, v9
	v_mov_b32_e32 v5, v10
	s_clause 0x1
	global_store_b64 v[2:3], v[34:35], off
	global_store_b64 v[4:5], v[38:39], off
	v_dual_mov_b32 v48, v0 :: v_dual_mov_b32 v7, v11
	global_store_b64 v[6:7], v[40:41], off
.LBB0_24:
	s_wait_alu 0xfffe
	s_or_b32 exec_lo, exec_lo, s1
	s_delay_alu instid0(SALU_CYCLE_1)
	s_and_not1_b32 s1, s16, exec_lo
	s_and_b32 s2, s3, exec_lo
	s_wait_alu 0xfffe
	s_or_b32 s16, s1, s2
.LBB0_25:
	s_wait_alu 0xfffe
	s_or_b32 exec_lo, exec_lo, s0
.LBB0_26:
	s_and_saveexec_b32 s0, s16
	s_cbranch_execnz .LBB0_28
; %bb.27:
	s_nop 0
	s_sendmsg sendmsg(MSG_DEALLOC_VGPRS)
	s_endpgm
.LBB0_28:
	s_wait_loadcnt 0x1
	v_dual_mul_f32 v0, 0x3f737871, v52 :: v_dual_mul_f32 v3, v21, v23
	v_dual_mul_f32 v1, 0x3f737871, v56 :: v_dual_mul_f32 v6, v20, v23
	;; [unrolled: 1-line block ×3, first 2 shown]
	s_delay_alu instid0(VALU_DEP_2) | instskip(NEXT) | instid1(VALU_DEP_4)
	v_dual_mul_f32 v4, 0x3e9e377a, v50 :: v_dual_sub_f32 v1, v53, v1
	v_fma_f32 v3, v20, v22, -v3
	v_dual_add_f32 v0, v49, v0 :: v_dual_mul_f32 v7, 0x3e9e377a, v55
	v_fmac_f32_e32 v6, v21, v22
	s_delay_alu instid0(VALU_DEP_4) | instskip(SKIP_1) | instid1(VALU_DEP_3)
	v_sub_f32_e32 v1, v1, v5
	s_wait_loadcnt 0x0
	v_dual_mul_f32 v5, v3, v19 :: v_dual_add_f32 v0, v2, v0
	s_delay_alu instid0(VALU_DEP_2) | instskip(NEXT) | instid1(VALU_DEP_2)
	v_dual_mul_f32 v2, v6, v19 :: v_dual_add_f32 v1, v7, v1
	v_dual_fmac_f32 v5, v18, v6 :: v_dual_add_f32 v4, v4, v0
	s_delay_alu instid0(VALU_DEP_2) | instskip(NEXT) | instid1(VALU_DEP_2)
	v_fma_f32 v2, v18, v3, -v2
	v_mul_f32_e32 v0, v1, v5
	s_delay_alu instid0(VALU_DEP_3) | instskip(NEXT) | instid1(VALU_DEP_2)
	v_mul_f32_e32 v3, v4, v5
	v_fmac_f32_e32 v0, v4, v2
	s_delay_alu instid0(VALU_DEP_2)
	v_fma_f32 v1, v1, v2, -v3
	global_store_b64 v[47:48], v[0:1], off
	s_nop 0
	s_sendmsg sendmsg(MSG_DEALLOC_VGPRS)
	s_endpgm
	.section	.rodata,"a",@progbits
	.p2align	6, 0x0
	.amdhsa_kernel fft_rtc_back_len80_factors_2_2_4_5_wgs_125_tpt_5_dim3_sp_ip_CI_sbcc_twdbase8_3step_dirReg
		.amdhsa_group_segment_fixed_size 0
		.amdhsa_private_segment_fixed_size 0
		.amdhsa_kernarg_size 88
		.amdhsa_user_sgpr_count 2
		.amdhsa_user_sgpr_dispatch_ptr 0
		.amdhsa_user_sgpr_queue_ptr 0
		.amdhsa_user_sgpr_kernarg_segment_ptr 1
		.amdhsa_user_sgpr_dispatch_id 0
		.amdhsa_user_sgpr_private_segment_size 0
		.amdhsa_wavefront_size32 1
		.amdhsa_uses_dynamic_stack 0
		.amdhsa_enable_private_segment 0
		.amdhsa_system_sgpr_workgroup_id_x 1
		.amdhsa_system_sgpr_workgroup_id_y 0
		.amdhsa_system_sgpr_workgroup_id_z 0
		.amdhsa_system_sgpr_workgroup_info 0
		.amdhsa_system_vgpr_workitem_id 0
		.amdhsa_next_free_vgpr 102
		.amdhsa_next_free_sgpr 25
		.amdhsa_reserve_vcc 1
		.amdhsa_float_round_mode_32 0
		.amdhsa_float_round_mode_16_64 0
		.amdhsa_float_denorm_mode_32 3
		.amdhsa_float_denorm_mode_16_64 3
		.amdhsa_fp16_overflow 0
		.amdhsa_workgroup_processor_mode 1
		.amdhsa_memory_ordered 1
		.amdhsa_forward_progress 0
		.amdhsa_round_robin_scheduling 0
		.amdhsa_exception_fp_ieee_invalid_op 0
		.amdhsa_exception_fp_denorm_src 0
		.amdhsa_exception_fp_ieee_div_zero 0
		.amdhsa_exception_fp_ieee_overflow 0
		.amdhsa_exception_fp_ieee_underflow 0
		.amdhsa_exception_fp_ieee_inexact 0
		.amdhsa_exception_int_div_zero 0
	.end_amdhsa_kernel
	.text
.Lfunc_end0:
	.size	fft_rtc_back_len80_factors_2_2_4_5_wgs_125_tpt_5_dim3_sp_ip_CI_sbcc_twdbase8_3step_dirReg, .Lfunc_end0-fft_rtc_back_len80_factors_2_2_4_5_wgs_125_tpt_5_dim3_sp_ip_CI_sbcc_twdbase8_3step_dirReg
                                        ; -- End function
	.section	.AMDGPU.csdata,"",@progbits
; Kernel info:
; codeLenInByte = 14284
; NumSgprs: 27
; NumVgprs: 102
; ScratchSize: 0
; MemoryBound: 0
; FloatMode: 240
; IeeeMode: 1
; LDSByteSize: 0 bytes/workgroup (compile time only)
; SGPRBlocks: 3
; VGPRBlocks: 12
; NumSGPRsForWavesPerEU: 27
; NumVGPRsForWavesPerEU: 102
; Occupancy: 12
; WaveLimiterHint : 1
; COMPUTE_PGM_RSRC2:SCRATCH_EN: 0
; COMPUTE_PGM_RSRC2:USER_SGPR: 2
; COMPUTE_PGM_RSRC2:TRAP_HANDLER: 0
; COMPUTE_PGM_RSRC2:TGID_X_EN: 1
; COMPUTE_PGM_RSRC2:TGID_Y_EN: 0
; COMPUTE_PGM_RSRC2:TGID_Z_EN: 0
; COMPUTE_PGM_RSRC2:TIDIG_COMP_CNT: 0
	.text
	.p2alignl 7, 3214868480
	.fill 96, 4, 3214868480
	.type	__hip_cuid_531fc150ccc0754b,@object ; @__hip_cuid_531fc150ccc0754b
	.section	.bss,"aw",@nobits
	.globl	__hip_cuid_531fc150ccc0754b
__hip_cuid_531fc150ccc0754b:
	.byte	0                               ; 0x0
	.size	__hip_cuid_531fc150ccc0754b, 1

	.ident	"AMD clang version 19.0.0git (https://github.com/RadeonOpenCompute/llvm-project roc-6.4.0 25133 c7fe45cf4b819c5991fe208aaa96edf142730f1d)"
	.section	".note.GNU-stack","",@progbits
	.addrsig
	.addrsig_sym __hip_cuid_531fc150ccc0754b
	.amdgpu_metadata
---
amdhsa.kernels:
  - .args:
      - .actual_access:  read_only
        .address_space:  global
        .offset:         0
        .size:           8
        .value_kind:     global_buffer
      - .address_space:  global
        .offset:         8
        .size:           8
        .value_kind:     global_buffer
      - .actual_access:  read_only
        .address_space:  global
        .offset:         16
        .size:           8
        .value_kind:     global_buffer
      - .actual_access:  read_only
        .address_space:  global
        .offset:         24
        .size:           8
        .value_kind:     global_buffer
      - .offset:         32
        .size:           8
        .value_kind:     by_value
      - .actual_access:  read_only
        .address_space:  global
        .offset:         40
        .size:           8
        .value_kind:     global_buffer
      - .actual_access:  read_only
        .address_space:  global
        .offset:         48
        .size:           8
        .value_kind:     global_buffer
      - .offset:         56
        .size:           4
        .value_kind:     by_value
      - .actual_access:  read_only
        .address_space:  global
        .offset:         64
        .size:           8
        .value_kind:     global_buffer
      - .actual_access:  read_only
        .address_space:  global
        .offset:         72
        .size:           8
        .value_kind:     global_buffer
      - .address_space:  global
        .offset:         80
        .size:           8
        .value_kind:     global_buffer
    .group_segment_fixed_size: 0
    .kernarg_segment_align: 8
    .kernarg_segment_size: 88
    .language:       OpenCL C
    .language_version:
      - 2
      - 0
    .max_flat_workgroup_size: 125
    .name:           fft_rtc_back_len80_factors_2_2_4_5_wgs_125_tpt_5_dim3_sp_ip_CI_sbcc_twdbase8_3step_dirReg
    .private_segment_fixed_size: 0
    .sgpr_count:     27
    .sgpr_spill_count: 0
    .symbol:         fft_rtc_back_len80_factors_2_2_4_5_wgs_125_tpt_5_dim3_sp_ip_CI_sbcc_twdbase8_3step_dirReg.kd
    .uniform_work_group_size: 1
    .uses_dynamic_stack: false
    .vgpr_count:     102
    .vgpr_spill_count: 0
    .wavefront_size: 32
    .workgroup_processor_mode: 1
amdhsa.target:   amdgcn-amd-amdhsa--gfx1201
amdhsa.version:
  - 1
  - 2
...

	.end_amdgpu_metadata
